;; amdgpu-corpus repo=ROCm/rocFFT kind=compiled arch=gfx906 opt=O3
	.text
	.amdgcn_target "amdgcn-amd-amdhsa--gfx906"
	.amdhsa_code_object_version 6
	.protected	fft_rtc_back_len289_factors_17_17_wgs_119_tpt_17_sp_op_CI_CI_sbcc_twdbase8_3step_dirReg ; -- Begin function fft_rtc_back_len289_factors_17_17_wgs_119_tpt_17_sp_op_CI_CI_sbcc_twdbase8_3step_dirReg
	.globl	fft_rtc_back_len289_factors_17_17_wgs_119_tpt_17_sp_op_CI_CI_sbcc_twdbase8_3step_dirReg
	.p2align	8
	.type	fft_rtc_back_len289_factors_17_17_wgs_119_tpt_17_sp_op_CI_CI_sbcc_twdbase8_3step_dirReg,@function
fft_rtc_back_len289_factors_17_17_wgs_119_tpt_17_sp_op_CI_CI_sbcc_twdbase8_3step_dirReg: ; @fft_rtc_back_len289_factors_17_17_wgs_119_tpt_17_sp_op_CI_CI_sbcc_twdbase8_3step_dirReg
; %bb.0:
	s_load_dwordx4 s[0:3], s[4:5], 0x18
	s_load_dwordx2 s[30:31], s[4:5], 0x28
	s_mov_b32 s7, 0
	s_mov_b64 s[24:25], 0
	s_waitcnt lgkmcnt(0)
	s_load_dwordx2 s[28:29], s[0:1], 0x8
	s_waitcnt lgkmcnt(0)
	s_add_u32 s8, s28, -1
	s_addc_u32 s9, s29, -1
	s_add_u32 s10, 0, 0x92481000
	s_addc_u32 s11, 0, 0x64
	s_mul_hi_u32 s13, s10, -7
	s_add_i32 s11, s11, 0x249248c0
	s_sub_i32 s13, s13, s10
	s_mul_i32 s16, s11, -7
	s_mul_i32 s12, s10, -7
	s_add_i32 s13, s13, s16
	s_mul_hi_u32 s14, s11, s12
	s_mul_i32 s15, s11, s12
	s_mul_i32 s17, s10, s13
	s_mul_hi_u32 s12, s10, s12
	s_mul_hi_u32 s16, s10, s13
	s_add_u32 s12, s12, s17
	s_addc_u32 s16, 0, s16
	s_add_u32 s12, s12, s15
	s_mul_hi_u32 s17, s11, s13
	s_addc_u32 s12, s16, s14
	s_addc_u32 s14, s17, 0
	s_mul_i32 s13, s11, s13
	s_add_u32 s12, s12, s13
	v_mov_b32_e32 v1, s12
	s_addc_u32 s13, 0, s14
	v_add_co_u32_e32 v1, vcc, s10, v1
	s_cmp_lg_u64 vcc, 0
	s_addc_u32 s10, s11, s13
	v_readfirstlane_b32 s13, v1
	s_mul_i32 s12, s8, s10
	s_mul_hi_u32 s14, s8, s13
	s_mul_hi_u32 s11, s8, s10
	s_add_u32 s12, s14, s12
	s_addc_u32 s11, 0, s11
	s_mul_hi_u32 s15, s9, s13
	s_mul_i32 s13, s9, s13
	s_add_u32 s12, s12, s13
	s_mul_hi_u32 s14, s9, s10
	s_addc_u32 s11, s11, s15
	s_addc_u32 s12, s14, 0
	s_mul_i32 s10, s9, s10
	s_add_u32 s10, s11, s10
	s_addc_u32 s11, 0, s12
	s_add_u32 s12, s10, 1
	s_addc_u32 s13, s11, 0
	s_add_u32 s14, s10, 2
	s_mul_i32 s16, s11, 7
	s_mul_hi_u32 s17, s10, 7
	s_addc_u32 s15, s11, 0
	s_add_i32 s17, s17, s16
	s_mul_i32 s16, s10, 7
	v_mov_b32_e32 v1, s16
	v_sub_co_u32_e32 v1, vcc, s8, v1
	s_cmp_lg_u64 vcc, 0
	s_subb_u32 s8, s9, s17
	v_subrev_co_u32_e32 v2, vcc, 7, v1
	s_cmp_lg_u64 vcc, 0
	s_subb_u32 s9, s8, 0
	v_readfirstlane_b32 s16, v2
	s_cmp_gt_u32 s16, 6
	s_cselect_b32 s16, -1, 0
	s_cmp_eq_u32 s9, 0
	s_cselect_b32 s9, s16, -1
	s_cmp_lg_u32 s9, 0
	s_cselect_b32 s9, s14, s12
	s_cselect_b32 s12, s15, s13
	v_readfirstlane_b32 s13, v1
	s_cmp_gt_u32 s13, 6
	s_cselect_b32 s13, -1, 0
	s_cmp_eq_u32 s8, 0
	s_cselect_b32 s8, s13, -1
	s_cmp_lg_u32 s8, 0
	s_cselect_b32 s9, s9, s10
	s_cselect_b32 s8, s12, s11
	s_add_u32 s36, s9, 1
	s_addc_u32 s37, s8, 0
	v_mov_b32_e32 v1, s36
	v_mov_b32_e32 v2, s37
	v_cmp_lt_u64_e32 vcc, s[6:7], v[1:2]
	s_cbranch_vccnz .LBB0_2
; %bb.1:
	v_cvt_f32_u32_e32 v1, s36
	s_sub_i32 s8, 0, s36
	s_mov_b32 s25, s7
	v_rcp_iflag_f32_e32 v1, v1
	v_mul_f32_e32 v1, 0x4f7ffffe, v1
	v_cvt_u32_f32_e32 v1, v1
	v_readfirstlane_b32 s9, v1
	s_mul_i32 s8, s8, s9
	s_mul_hi_u32 s8, s9, s8
	s_add_i32 s9, s9, s8
	s_mul_hi_u32 s8, s6, s9
	s_mul_i32 s10, s8, s36
	s_sub_i32 s10, s6, s10
	s_add_i32 s9, s8, 1
	s_sub_i32 s11, s10, s36
	s_cmp_ge_u32 s10, s36
	s_cselect_b32 s8, s9, s8
	s_cselect_b32 s10, s11, s10
	s_add_i32 s9, s8, 1
	s_cmp_ge_u32 s10, s36
	s_cselect_b32 s24, s9, s8
.LBB0_2:
	s_load_dwordx4 s[12:15], s[4:5], 0x60
	s_load_dwordx4 s[20:23], s[2:3], 0x0
	;; [unrolled: 1-line block ×3, first 2 shown]
	s_load_dwordx2 s[26:27], s[4:5], 0x0
	s_load_dwordx4 s[16:19], s[4:5], 0x8
	s_mul_i32 s4, s24, s37
	s_mul_hi_u32 s5, s24, s36
	s_add_i32 s5, s5, s4
	s_mul_i32 s4, s24, s36
	s_sub_u32 s52, s6, s4
	s_subb_u32 s4, 0, s5
	s_mul_i32 s4, s4, 7
	s_mul_hi_u32 s33, s52, 7
	s_add_i32 s33, s33, s4
	s_mul_i32 s52, s52, 7
	s_waitcnt lgkmcnt(0)
	s_mul_i32 s4, s22, s33
	s_mul_hi_u32 s5, s22, s52
	s_add_i32 s4, s5, s4
	s_mul_i32 s5, s23, s52
	s_add_i32 s35, s4, s5
	s_mul_i32 s4, s10, s33
	s_mul_hi_u32 s5, s10, s52
	v_cmp_lt_u64_e64 s[38:39], s[18:19], 3
	s_add_i32 s4, s5, s4
	s_mul_i32 s5, s11, s52
	s_mul_i32 s34, s22, s52
	s_add_i32 s5, s4, s5
	s_mul_i32 s4, s10, s52
	s_and_b64 vcc, exec, s[38:39]
	s_cbranch_vccnz .LBB0_12
; %bb.3:
	s_add_u32 s38, s30, 16
	s_addc_u32 s39, s31, 0
	s_add_u32 s40, s2, 16
	s_addc_u32 s41, s3, 0
	s_add_u32 s42, s0, 16
	v_mov_b32_e32 v1, s18
	s_addc_u32 s43, s1, 0
	s_mov_b64 s[44:45], 2
	s_mov_b32 s46, 0
	v_mov_b32_e32 v2, s19
.LBB0_4:                                ; =>This Inner Loop Header: Depth=1
	s_load_dwordx2 s[48:49], s[42:43], 0x0
	s_waitcnt lgkmcnt(0)
	s_or_b64 s[0:1], s[24:25], s[48:49]
	s_mov_b32 s47, s1
	s_cmp_lg_u64 s[46:47], 0
	s_cbranch_scc0 .LBB0_9
; %bb.5:                                ;   in Loop: Header=BB0_4 Depth=1
	v_cvt_f32_u32_e32 v3, s48
	v_cvt_f32_u32_e32 v4, s49
	s_sub_u32 s0, 0, s48
	s_subb_u32 s1, 0, s49
	v_mac_f32_e32 v3, 0x4f800000, v4
	v_rcp_f32_e32 v3, v3
	v_mul_f32_e32 v3, 0x5f7ffffc, v3
	v_mul_f32_e32 v4, 0x2f800000, v3
	v_trunc_f32_e32 v4, v4
	v_mac_f32_e32 v3, 0xcf800000, v4
	v_cvt_u32_f32_e32 v4, v4
	v_cvt_u32_f32_e32 v3, v3
	v_readfirstlane_b32 s47, v4
	v_readfirstlane_b32 s50, v3
	s_mul_i32 s51, s0, s47
	s_mul_hi_u32 s54, s0, s50
	s_mul_i32 s53, s1, s50
	s_add_i32 s51, s54, s51
	s_mul_i32 s55, s0, s50
	s_add_i32 s51, s51, s53
	s_mul_hi_u32 s53, s50, s51
	s_mul_i32 s54, s50, s51
	s_mul_hi_u32 s50, s50, s55
	s_add_u32 s50, s50, s54
	s_addc_u32 s53, 0, s53
	s_mul_hi_u32 s56, s47, s55
	s_mul_i32 s55, s47, s55
	s_add_u32 s50, s50, s55
	s_mul_hi_u32 s54, s47, s51
	s_addc_u32 s50, s53, s56
	s_addc_u32 s53, s54, 0
	s_mul_i32 s51, s47, s51
	s_add_u32 s50, s50, s51
	s_addc_u32 s51, 0, s53
	v_add_co_u32_e32 v3, vcc, s50, v3
	s_cmp_lg_u64 vcc, 0
	s_addc_u32 s47, s47, s51
	v_readfirstlane_b32 s51, v3
	s_mul_i32 s50, s0, s47
	s_mul_hi_u32 s53, s0, s51
	s_add_i32 s50, s53, s50
	s_mul_i32 s1, s1, s51
	s_add_i32 s50, s50, s1
	s_mul_i32 s0, s0, s51
	s_mul_hi_u32 s53, s47, s0
	s_mul_i32 s54, s47, s0
	s_mul_i32 s56, s51, s50
	s_mul_hi_u32 s0, s51, s0
	s_mul_hi_u32 s55, s51, s50
	s_add_u32 s0, s0, s56
	s_addc_u32 s51, 0, s55
	s_add_u32 s0, s0, s54
	s_mul_hi_u32 s1, s47, s50
	s_addc_u32 s0, s51, s53
	s_addc_u32 s1, s1, 0
	s_mul_i32 s50, s47, s50
	s_add_u32 s0, s0, s50
	s_addc_u32 s1, 0, s1
	v_add_co_u32_e32 v3, vcc, s0, v3
	s_cmp_lg_u64 vcc, 0
	s_addc_u32 s0, s47, s1
	v_readfirstlane_b32 s50, v3
	s_mul_i32 s47, s24, s0
	s_mul_hi_u32 s51, s24, s50
	s_mul_hi_u32 s1, s24, s0
	s_add_u32 s47, s51, s47
	s_addc_u32 s1, 0, s1
	s_mul_hi_u32 s53, s25, s50
	s_mul_i32 s50, s25, s50
	s_add_u32 s47, s47, s50
	s_mul_hi_u32 s51, s25, s0
	s_addc_u32 s1, s1, s53
	s_addc_u32 s47, s51, 0
	s_mul_i32 s0, s25, s0
	s_add_u32 s50, s1, s0
	s_addc_u32 s47, 0, s47
	s_mul_i32 s0, s48, s47
	s_mul_hi_u32 s1, s48, s50
	s_add_i32 s0, s1, s0
	s_mul_i32 s1, s49, s50
	s_add_i32 s51, s0, s1
	s_mul_i32 s1, s48, s50
	v_mov_b32_e32 v3, s1
	s_sub_i32 s0, s25, s51
	v_sub_co_u32_e32 v3, vcc, s24, v3
	s_cmp_lg_u64 vcc, 0
	s_subb_u32 s53, s0, s49
	v_subrev_co_u32_e64 v4, s[0:1], s48, v3
	s_cmp_lg_u64 s[0:1], 0
	s_subb_u32 s0, s53, 0
	s_cmp_ge_u32 s0, s49
	v_readfirstlane_b32 s53, v4
	s_cselect_b32 s1, -1, 0
	s_cmp_ge_u32 s53, s48
	s_cselect_b32 s53, -1, 0
	s_cmp_eq_u32 s0, s49
	s_cselect_b32 s0, s53, s1
	s_add_u32 s1, s50, 1
	s_addc_u32 s53, s47, 0
	s_add_u32 s54, s50, 2
	s_addc_u32 s55, s47, 0
	s_cmp_lg_u32 s0, 0
	s_cselect_b32 s0, s54, s1
	s_cselect_b32 s1, s55, s53
	s_cmp_lg_u64 vcc, 0
	s_subb_u32 s51, s25, s51
	s_cmp_ge_u32 s51, s49
	v_readfirstlane_b32 s54, v3
	s_cselect_b32 s53, -1, 0
	s_cmp_ge_u32 s54, s48
	s_cselect_b32 s54, -1, 0
	s_cmp_eq_u32 s51, s49
	s_cselect_b32 s51, s54, s53
	s_cmp_lg_u32 s51, 0
	s_cselect_b32 s1, s1, s47
	s_cselect_b32 s0, s0, s50
	s_cbranch_execnz .LBB0_7
.LBB0_6:                                ;   in Loop: Header=BB0_4 Depth=1
	v_cvt_f32_u32_e32 v3, s48
	s_sub_i32 s0, 0, s48
	v_rcp_iflag_f32_e32 v3, v3
	v_mul_f32_e32 v3, 0x4f7ffffe, v3
	v_cvt_u32_f32_e32 v3, v3
	v_readfirstlane_b32 s1, v3
	s_mul_i32 s0, s0, s1
	s_mul_hi_u32 s0, s1, s0
	s_add_i32 s1, s1, s0
	s_mul_hi_u32 s0, s24, s1
	s_mul_i32 s47, s0, s48
	s_sub_i32 s47, s24, s47
	s_add_i32 s1, s0, 1
	s_sub_i32 s50, s47, s48
	s_cmp_ge_u32 s47, s48
	s_cselect_b32 s0, s1, s0
	s_cselect_b32 s47, s50, s47
	s_add_i32 s1, s0, 1
	s_cmp_ge_u32 s47, s48
	s_cselect_b32 s0, s1, s0
	s_mov_b32 s1, s46
.LBB0_7:                                ;   in Loop: Header=BB0_4 Depth=1
	s_mul_i32 s37, s48, s37
	s_mul_hi_u32 s47, s48, s36
	s_add_i32 s37, s47, s37
	s_mul_i32 s47, s49, s36
	s_add_i32 s37, s37, s47
	s_mul_i32 s47, s0, s49
	s_mul_hi_u32 s49, s0, s48
	s_load_dwordx2 s[50:51], s[40:41], 0x0
	s_add_i32 s47, s49, s47
	s_mul_i32 s49, s1, s48
	s_mul_i32 s36, s48, s36
	s_add_i32 s47, s47, s49
	s_mul_i32 s48, s0, s48
	s_sub_u32 s48, s24, s48
	s_subb_u32 s47, s25, s47
	s_waitcnt lgkmcnt(0)
	s_mul_i32 s24, s50, s47
	s_mul_hi_u32 s25, s50, s48
	s_add_i32 s49, s25, s24
	s_load_dwordx2 s[24:25], s[38:39], 0x0
	s_mul_i32 s51, s51, s48
	s_add_i32 s49, s49, s51
	s_mul_i32 s50, s50, s48
	s_add_u32 s34, s50, s34
	s_addc_u32 s35, s49, s35
	s_waitcnt lgkmcnt(0)
	s_mul_i32 s47, s24, s47
	s_mul_hi_u32 s49, s24, s48
	s_add_i32 s47, s49, s47
	s_mul_i32 s25, s25, s48
	s_add_i32 s47, s47, s25
	s_mul_i32 s24, s24, s48
	s_add_u32 s4, s24, s4
	s_addc_u32 s5, s47, s5
	s_add_u32 s44, s44, 1
	s_addc_u32 s45, s45, 0
	;; [unrolled: 2-line block ×4, first 2 shown]
	v_cmp_ge_u64_e32 vcc, s[44:45], v[1:2]
	s_add_u32 s42, s42, 8
	s_addc_u32 s43, s43, 0
	s_cbranch_vccnz .LBB0_10
; %bb.8:                                ;   in Loop: Header=BB0_4 Depth=1
	s_mov_b64 s[24:25], s[0:1]
	s_branch .LBB0_4
.LBB0_9:                                ;   in Loop: Header=BB0_4 Depth=1
                                        ; implicit-def: $sgpr0_sgpr1
	s_branch .LBB0_6
.LBB0_10:
	v_mov_b32_e32 v1, s36
	v_mov_b32_e32 v2, s37
	v_cmp_lt_u64_e32 vcc, s[6:7], v[1:2]
	s_mov_b64 s[24:25], 0
	s_cbranch_vccnz .LBB0_12
; %bb.11:
	v_cvt_f32_u32_e32 v1, s36
	s_sub_i32 s0, 0, s36
	v_rcp_iflag_f32_e32 v1, v1
	v_mul_f32_e32 v1, 0x4f7ffffe, v1
	v_cvt_u32_f32_e32 v1, v1
	v_readfirstlane_b32 s1, v1
	s_mul_i32 s0, s0, s1
	s_mul_hi_u32 s0, s1, s0
	s_add_i32 s1, s1, s0
	s_mul_hi_u32 s0, s6, s1
	s_mul_i32 s7, s0, s36
	s_sub_i32 s6, s6, s7
	s_add_i32 s1, s0, 1
	s_sub_i32 s7, s6, s36
	s_cmp_ge_u32 s6, s36
	s_cselect_b32 s0, s1, s0
	s_cselect_b32 s6, s7, s6
	s_add_i32 s1, s0, 1
	s_cmp_ge_u32 s6, s36
	s_cselect_b32 s24, s1, s0
.LBB0_12:
	v_mul_u32_u24_e32 v1, 0x2493, v0
	v_lshrrev_b32_e32 v38, 16, v1
	s_lshl_b64 s[36:37], s[18:19], 3
	v_mul_lo_u16_e32 v1, 7, v38
	s_add_u32 s18, s30, s36
	v_sub_u16_e32 v44, v0, v1
	s_addc_u32 s19, s31, s37
	v_mov_b32_e32 v1, s33
	v_add_co_u32_e32 v21, vcc, s52, v44
	v_addc_co_u32_e32 v22, vcc, 0, v1, vcc
	s_add_u32 s0, s52, 7
	v_mov_b32_e32 v1, s28
	s_addc_u32 s1, s33, 0
	v_mov_b32_e32 v2, s29
	v_cmp_le_u64_e32 vcc, s[0:1], v[1:2]
	v_cmp_gt_u64_e64 s[0:1], s[28:29], v[21:22]
                                        ; kill: def $vgpr1 killed $sgpr0 killed $exec
                                        ; implicit-def: $vgpr8
                                        ; implicit-def: $vgpr35
                                        ; implicit-def: $vgpr31
                                        ; implicit-def: $vgpr27
                                        ; implicit-def: $vgpr23
                                        ; implicit-def: $vgpr18
                                        ; implicit-def: $vgpr14
                                        ; implicit-def: $vgpr10
                                        ; implicit-def: $vgpr2
                                        ; implicit-def: $vgpr37
                                        ; implicit-def: $vgpr33
                                        ; implicit-def: $vgpr29
                                        ; implicit-def: $vgpr25
                                        ; implicit-def: $vgpr20
                                        ; implicit-def: $vgpr16
                                        ; implicit-def: $vgpr12
                                        ; implicit-def: $vgpr4
	s_or_b64 s[6:7], vcc, s[0:1]
	s_and_saveexec_b64 s[0:1], s[6:7]
	s_cbranch_execz .LBB0_14
; %bb.13:
	s_add_u32 s2, s2, s36
	s_addc_u32 s3, s3, s37
	s_load_dwordx2 s[2:3], s[2:3], 0x0
	v_mad_u64_u32 v[1:2], s[28:29], s22, v44, 0
	v_mad_u64_u32 v[3:4], s[28:29], s20, v38, 0
	s_waitcnt lgkmcnt(0)
	s_mul_i32 s3, s3, s24
	s_mul_hi_u32 s25, s2, s24
	s_add_i32 s3, s25, s3
	s_mul_i32 s2, s2, s24
	v_mad_u64_u32 v[5:6], s[22:23], s23, v44, v[2:3]
	v_mov_b32_e32 v2, v4
	s_lshl_b64 s[2:3], s[2:3], 3
	v_mad_u64_u32 v[6:7], s[22:23], s21, v38, v[2:3]
	s_add_u32 s12, s12, s2
	s_addc_u32 s13, s13, s3
	s_lshl_b64 s[2:3], s[34:35], 3
	s_add_u32 s12, s12, s2
	s_addc_u32 s2, s13, s3
	v_add_u32_e32 v8, 17, v38
	v_mov_b32_e32 v2, v5
	v_mov_b32_e32 v4, v6
	;; [unrolled: 1-line block ×3, first 2 shown]
	v_mad_u64_u32 v[5:6], s[2:3], s20, v8, 0
	v_lshlrev_b64 v[1:2], 3, v[1:2]
	v_add_co_u32_e32 v9, vcc, s12, v1
	v_addc_co_u32_e32 v10, vcc, v7, v2, vcc
	v_lshlrev_b64 v[1:2], 3, v[3:4]
	v_mov_b32_e32 v3, v6
	v_mad_u64_u32 v[3:4], s[2:3], s21, v8, v[3:4]
	v_add_u32_e32 v4, 34, v38
	v_mad_u64_u32 v[7:8], s[2:3], s20, v4, 0
	v_add_co_u32_e32 v32, vcc, v9, v1
	v_mov_b32_e32 v6, v3
	v_mov_b32_e32 v3, v8
	v_addc_co_u32_e32 v33, vcc, v10, v2, vcc
	v_lshlrev_b64 v[1:2], 3, v[5:6]
	v_mad_u64_u32 v[3:4], s[2:3], s21, v4, v[3:4]
	v_add_u32_e32 v6, 51, v38
	v_mad_u64_u32 v[4:5], s[2:3], s20, v6, 0
	v_add_co_u32_e32 v36, vcc, v9, v1
	v_mov_b32_e32 v8, v3
	v_mov_b32_e32 v3, v5
	v_addc_co_u32_e32 v37, vcc, v10, v2, vcc
	v_lshlrev_b64 v[1:2], 3, v[7:8]
	v_mad_u64_u32 v[5:6], s[2:3], s21, v6, v[3:4]
	v_add_u32_e32 v8, 0x44, v38
	v_mad_u64_u32 v[6:7], s[2:3], s20, v8, 0
	v_add_co_u32_e32 v39, vcc, v9, v1
	v_mov_b32_e32 v3, v7
	v_addc_co_u32_e32 v40, vcc, v10, v2, vcc
	v_lshlrev_b64 v[1:2], 3, v[4:5]
	v_mad_u64_u32 v[3:4], s[2:3], s21, v8, v[3:4]
	v_add_u32_e32 v8, 0x55, v38
	v_mad_u64_u32 v[4:5], s[2:3], s20, v8, 0
	v_add_co_u32_e32 v41, vcc, v9, v1
	v_mov_b32_e32 v7, v3
	v_mov_b32_e32 v3, v5
	v_addc_co_u32_e32 v42, vcc, v10, v2, vcc
	v_lshlrev_b64 v[1:2], 3, v[6:7]
	v_mad_u64_u32 v[5:6], s[2:3], s21, v8, v[3:4]
	v_add_u32_e32 v8, 0x66, v38
	v_mad_u64_u32 v[6:7], s[2:3], s20, v8, 0
	v_add_co_u32_e32 v45, vcc, v9, v1
	;; [unrolled: 15-line block ×7, first 2 shown]
	v_mov_b32_e32 v3, v7
	v_addc_co_u32_e32 v66, vcc, v10, v2, vcc
	v_lshlrev_b64 v[1:2], 3, v[4:5]
	v_mad_u64_u32 v[3:4], s[2:3], s21, v8, v[3:4]
	v_add_co_u32_e32 v67, vcc, v9, v1
	v_mov_b32_e32 v7, v3
	v_addc_co_u32_e32 v68, vcc, v10, v2, vcc
	v_lshlrev_b64 v[1:2], 3, v[6:7]
	v_add_co_u32_e32 v5, vcc, v9, v1
	v_addc_co_u32_e32 v6, vcc, v10, v2, vcc
	global_load_dwordx2 v[7:8], v[32:33], off
	global_load_dwordx2 v[34:35], v[36:37], off
	;; [unrolled: 1-line block ×15, first 2 shown]
                                        ; kill: killed $vgpr57 killed $vgpr58
                                        ; kill: killed $vgpr47 killed $vgpr48
                                        ; kill: killed $vgpr32 killed $vgpr33
                                        ; kill: killed $vgpr61 killed $vgpr62
                                        ; kill: killed $vgpr51 killed $vgpr52
                                        ; kill: killed $vgpr39 killed $vgpr40
                                        ; kill: killed $vgpr65 killed $vgpr66
                                        ; kill: killed $vgpr55 killed $vgpr56
                                        ; kill: killed $vgpr45 killed $vgpr46
                                        ; kill: killed $vgpr59 killed $vgpr60
                                        ; kill: killed $vgpr49 killed $vgpr50
                                        ; kill: killed $vgpr36 killed $vgpr37
                                        ; kill: killed $vgpr63 killed $vgpr64
                                        ; kill: killed $vgpr53 killed $vgpr54
                                        ; kill: killed $vgpr41 killed $vgpr42
	global_load_dwordx2 v[32:33], v[67:68], off
	global_load_dwordx2 v[36:37], v[5:6], off
.LBB0_14:
	s_or_b64 exec, exec, s[0:1]
	s_waitcnt vmcnt(15)
	v_add_f32_e32 v5, v7, v34
	v_add_f32_e32 v6, v8, v35
	s_waitcnt vmcnt(14)
	v_add_f32_e32 v5, v5, v30
	v_add_f32_e32 v6, v6, v31
	;; [unrolled: 3-line block ×14, first 2 shown]
	s_waitcnt vmcnt(1)
	v_add_f32_e32 v5, v32, v5
	s_waitcnt vmcnt(0)
	v_sub_f32_e32 v42, v35, v37
	v_add_f32_e32 v6, v33, v6
	v_add_f32_e32 v5, v36, v5
	;; [unrolled: 1-line block ×3, first 2 shown]
	v_sub_f32_e32 v36, v34, v36
	v_mul_f32_e32 v34, 0xbeb8f4ab, v42
	s_mov_b32 s2, 0x3f6eb680
	v_mul_f32_e32 v43, 0xbf2c7751, v42
	s_mov_b32 s3, 0x3f3d2fb0
	v_add_f32_e32 v6, v37, v6
	v_add_f32_e32 v39, v35, v37
	v_mov_b32_e32 v37, v34
	v_fma_f32 v40, v41, s2, -v34
	v_add_f32_e32 v35, v30, v32
	v_add_f32_e32 v34, v31, v33
	v_sub_f32_e32 v30, v30, v32
	v_sub_f32_e32 v31, v31, v33
	v_add_f32_e32 v33, v26, v28
	v_add_f32_e32 v32, v27, v29
	v_sub_f32_e32 v26, v26, v28
	v_sub_f32_e32 v27, v27, v29
	v_add_f32_e32 v29, v22, v24
	v_add_f32_e32 v28, v23, v25
	v_sub_f32_e32 v22, v22, v24
	v_sub_f32_e32 v23, v23, v25
	v_add_f32_e32 v25, v17, v19
	v_add_f32_e32 v24, v18, v20
	v_sub_f32_e32 v17, v17, v19
	v_sub_f32_e32 v18, v18, v20
	v_add_f32_e32 v20, v13, v15
	v_add_f32_e32 v19, v14, v16
	v_sub_f32_e32 v15, v13, v15
	v_sub_f32_e32 v16, v14, v16
	v_add_f32_e32 v14, v9, v11
	v_add_f32_e32 v13, v10, v12
	v_sub_f32_e32 v9, v9, v11
	v_sub_f32_e32 v10, v10, v12
	v_mov_b32_e32 v11, v43
	v_fma_f32 v12, v41, s3, -v43
	v_mul_f32_e32 v43, 0xbf65296c, v42
	v_mul_f32_e32 v46, 0xbf7ee86f, v42
	;; [unrolled: 1-line block ×6, first 2 shown]
	s_mov_b32 s12, 0x3ee437d1
	v_mov_b32_e32 v45, v43
	s_mov_b32 s13, 0x3dbcf732
	v_mov_b32_e32 v47, v46
	;; [unrolled: 2-line block ×6, first 2 shown]
	v_fmac_f32_e32 v37, 0x3f6eb680, v41
	v_fmac_f32_e32 v11, 0x3f3d2fb0, v41
	;; [unrolled: 1-line block ×3, first 2 shown]
	v_fma_f32 v43, v41, s12, -v43
	v_fmac_f32_e32 v47, 0x3dbcf732, v41
	v_fma_f32 v46, v41, s13, -v46
	v_fmac_f32_e32 v49, 0xbe8c1d8e, v41
	;; [unrolled: 2-line block ×5, first 2 shown]
	v_fma_f32 v41, v41, s23, -v42
	v_mul_f32_e32 v42, 0xbeb8f4ab, v36
	v_mul_f32_e32 v56, 0xbf2c7751, v36
	;; [unrolled: 1-line block ×8, first 2 shown]
	v_fma_f32 v55, v39, s2, -v42
	v_fmac_f32_e32 v42, 0x3f6eb680, v39
	v_fma_f32 v57, v39, s3, -v56
	v_fmac_f32_e32 v56, 0x3f3d2fb0, v39
	;; [unrolled: 2-line block ×8, first 2 shown]
	v_add_f32_e32 v39, v8, v55
	v_add_f32_e32 v42, v8, v42
	v_add_f32_e32 v55, v8, v57
	v_add_f32_e32 v56, v8, v56
	v_add_f32_e32 v57, v8, v59
	v_add_f32_e32 v58, v8, v58
	v_add_f32_e32 v59, v8, v61
	v_add_f32_e32 v60, v8, v60
	v_add_f32_e32 v61, v8, v63
	v_add_f32_e32 v62, v8, v62
	v_add_f32_e32 v63, v8, v65
	v_add_f32_e32 v64, v8, v64
	v_add_f32_e32 v65, v8, v67
	v_add_f32_e32 v66, v8, v66
	v_add_f32_e32 v67, v8, v68
	v_add_f32_e32 v8, v8, v36
	v_mul_f32_e32 v36, 0xbf2c7751, v31
	v_add_f32_e32 v37, v7, v37
	v_add_f32_e32 v40, v7, v40
	;; [unrolled: 1-line block ×16, first 2 shown]
	v_mov_b32_e32 v41, v36
	v_fmac_f32_e32 v41, 0x3f3d2fb0, v35
	v_add_f32_e32 v37, v37, v41
	v_mul_f32_e32 v41, 0xbf2c7751, v30
	v_fma_f32 v68, v34, s3, -v41
	v_fma_f32 v36, v35, s3, -v36
	v_fmac_f32_e32 v41, 0x3f3d2fb0, v34
	v_add_f32_e32 v36, v40, v36
	v_add_f32_e32 v40, v42, v41
	v_mul_f32_e32 v41, 0xbf7ee86f, v31
	v_mov_b32_e32 v42, v41
	v_fmac_f32_e32 v42, 0x3dbcf732, v35
	v_add_f32_e32 v11, v11, v42
	v_mul_f32_e32 v42, 0xbf7ee86f, v30
	v_add_f32_e32 v39, v39, v68
	v_fma_f32 v68, v34, s13, -v42
	v_fma_f32 v41, v35, s13, -v41
	v_fmac_f32_e32 v42, 0x3dbcf732, v34
	v_add_f32_e32 v12, v12, v41
	v_add_f32_e32 v41, v56, v42
	v_mul_f32_e32 v42, 0xbf4c4adb, v31
	v_mov_b32_e32 v56, v42
	v_fmac_f32_e32 v56, 0xbf1a4643, v35
	v_add_f32_e32 v45, v45, v56
	v_mul_f32_e32 v56, 0xbf4c4adb, v30
	v_add_f32_e32 v55, v55, v68
	v_fma_f32 v68, v34, s21, -v56
	v_fma_f32 v42, v35, s21, -v42
	v_fmac_f32_e32 v56, 0xbf1a4643, v34
	v_add_f32_e32 v42, v43, v42
	v_add_f32_e32 v43, v58, v56
	v_mul_f32_e32 v56, 0xbe3c28d5, v31
	v_mov_b32_e32 v58, v56
	v_fmac_f32_e32 v58, 0xbf7ba420, v35
	v_add_f32_e32 v47, v47, v58
	v_mul_f32_e32 v58, 0xbe3c28d5, v30
	v_add_f32_e32 v57, v57, v68
	v_fma_f32 v68, v34, s23, -v58
	v_fma_f32 v56, v35, s23, -v56
	v_fmac_f32_e32 v58, 0xbf7ba420, v34
	v_add_f32_e32 v46, v46, v56
	v_add_f32_e32 v56, v60, v58
	v_mul_f32_e32 v58, 0x3f06c442, v31
	v_mov_b32_e32 v60, v58
	v_fmac_f32_e32 v60, 0xbf59a7d5, v35
	v_add_f32_e32 v49, v49, v60
	v_mul_f32_e32 v60, 0x3f06c442, v30
	v_add_f32_e32 v59, v59, v68
	v_fma_f32 v68, v34, s22, -v60
	v_fma_f32 v58, v35, s22, -v58
	v_fmac_f32_e32 v60, 0xbf59a7d5, v34
	v_add_f32_e32 v48, v48, v58
	v_add_f32_e32 v58, v62, v60
	v_mul_f32_e32 v60, 0x3f763a35, v31
	v_mov_b32_e32 v62, v60
	v_fmac_f32_e32 v62, 0xbe8c1d8e, v35
	v_add_f32_e32 v51, v51, v62
	v_mul_f32_e32 v62, 0x3f763a35, v30
	v_add_f32_e32 v61, v61, v68
	v_fma_f32 v68, v34, s20, -v62
	v_fma_f32 v60, v35, s20, -v60
	v_fmac_f32_e32 v62, 0xbe8c1d8e, v34
	v_add_f32_e32 v50, v50, v60
	v_add_f32_e32 v60, v64, v62
	v_mul_f32_e32 v62, 0x3f65296c, v31
	v_mov_b32_e32 v64, v62
	v_fmac_f32_e32 v64, 0x3ee437d1, v35
	v_add_f32_e32 v53, v53, v64
	v_mul_f32_e32 v64, 0x3f65296c, v30
	v_add_f32_e32 v63, v63, v68
	v_fma_f32 v68, v34, s12, -v64
	v_fma_f32 v62, v35, s12, -v62
	v_fmac_f32_e32 v64, 0x3ee437d1, v34
	v_mul_f32_e32 v31, 0x3eb8f4ab, v31
	v_add_f32_e32 v52, v52, v62
	v_add_f32_e32 v62, v66, v64
	v_mov_b32_e32 v64, v31
	v_fmac_f32_e32 v64, 0x3f6eb680, v35
	v_mul_f32_e32 v30, 0x3eb8f4ab, v30
	v_add_f32_e32 v54, v54, v64
	v_fma_f32 v64, v34, s2, -v30
	v_fmac_f32_e32 v30, 0x3f6eb680, v34
	v_fma_f32 v31, v35, s2, -v31
	v_add_f32_e32 v8, v8, v30
	v_mul_f32_e32 v30, 0xbf65296c, v27
	v_add_f32_e32 v7, v7, v31
	v_mov_b32_e32 v31, v30
	v_fma_f32 v30, v33, s12, -v30
	v_fmac_f32_e32 v31, 0x3ee437d1, v33
	v_add_f32_e32 v30, v36, v30
	v_mul_f32_e32 v36, 0xbf4c4adb, v27
	v_add_f32_e32 v31, v37, v31
	v_mov_b32_e32 v37, v36
	v_mul_f32_e32 v34, 0xbf65296c, v26
	v_fmac_f32_e32 v37, 0xbf1a4643, v33
	v_fma_f32 v35, v32, s12, -v34
	v_add_f32_e32 v11, v11, v37
	v_mul_f32_e32 v37, 0xbf4c4adb, v26
	v_add_f32_e32 v35, v39, v35
	v_fma_f32 v39, v32, s21, -v37
	v_fma_f32 v36, v33, s21, -v36
	v_fmac_f32_e32 v37, 0xbf1a4643, v32
	v_fmac_f32_e32 v34, 0x3ee437d1, v32
	v_add_f32_e32 v12, v12, v36
	v_add_f32_e32 v36, v41, v37
	v_mul_f32_e32 v37, 0x3e3c28d5, v27
	v_add_f32_e32 v34, v40, v34
	v_mov_b32_e32 v40, v37
	v_fmac_f32_e32 v40, 0xbf7ba420, v33
	v_mul_f32_e32 v41, 0x3e3c28d5, v26
	v_fma_f32 v37, v33, s23, -v37
	v_add_f32_e32 v40, v45, v40
	v_fma_f32 v45, v32, s23, -v41
	v_add_f32_e32 v37, v42, v37
	v_fmac_f32_e32 v41, 0xbf7ba420, v32
	v_mul_f32_e32 v42, 0x3f763a35, v27
	v_add_f32_e32 v41, v43, v41
	v_mov_b32_e32 v43, v42
	v_fmac_f32_e32 v43, 0xbe8c1d8e, v33
	v_add_f32_e32 v43, v47, v43
	v_mul_f32_e32 v47, 0x3f763a35, v26
	v_add_f32_e32 v39, v55, v39
	v_fma_f32 v55, v32, s20, -v47
	v_fma_f32 v42, v33, s20, -v42
	v_fmac_f32_e32 v47, 0xbe8c1d8e, v32
	v_add_f32_e32 v42, v46, v42
	v_add_f32_e32 v46, v56, v47
	v_mul_f32_e32 v47, 0x3f2c7751, v27
	v_mov_b32_e32 v56, v47
	v_fmac_f32_e32 v56, 0x3f3d2fb0, v33
	v_add_f32_e32 v49, v49, v56
	v_mul_f32_e32 v56, 0x3f2c7751, v26
	v_add_f32_e32 v45, v57, v45
	v_fma_f32 v57, v32, s3, -v56
	v_fma_f32 v47, v33, s3, -v47
	v_fmac_f32_e32 v56, 0x3f3d2fb0, v32
	v_add_f32_e32 v47, v48, v47
	v_add_f32_e32 v48, v58, v56
	v_mul_f32_e32 v56, 0xbeb8f4ab, v27
	;; [unrolled: 11-line block ×3, first 2 shown]
	v_mov_b32_e32 v60, v58
	v_fmac_f32_e32 v60, 0x3dbcf732, v33
	v_add_f32_e32 v53, v53, v60
	v_mul_f32_e32 v60, 0xbf7ee86f, v26
	v_add_f32_e32 v57, v61, v57
	v_fma_f32 v61, v32, s13, -v60
	v_fma_f32 v58, v33, s13, -v58
	v_fmac_f32_e32 v60, 0x3dbcf732, v32
	v_mul_f32_e32 v27, 0xbf06c442, v27
	v_add_f32_e32 v52, v52, v58
	v_add_f32_e32 v58, v62, v60
	v_mov_b32_e32 v60, v27
	v_fmac_f32_e32 v60, 0xbf59a7d5, v33
	v_mul_f32_e32 v26, 0xbf06c442, v26
	v_add_f32_e32 v54, v54, v60
	v_fma_f32 v60, v32, s22, -v26
	v_fmac_f32_e32 v26, 0xbf59a7d5, v32
	v_fma_f32 v27, v33, s22, -v27
	v_add_f32_e32 v8, v8, v26
	v_mul_f32_e32 v26, 0xbf7ee86f, v23
	v_add_f32_e32 v7, v7, v27
	v_mov_b32_e32 v27, v26
	v_fmac_f32_e32 v27, 0x3dbcf732, v29
	v_add_f32_e32 v27, v31, v27
	v_mul_f32_e32 v31, 0xbf7ee86f, v22
	v_fma_f32 v32, v28, s13, -v31
	v_fma_f32 v26, v29, s13, -v26
	v_fmac_f32_e32 v31, 0x3dbcf732, v28
	v_add_f32_e32 v26, v30, v26
	v_add_f32_e32 v30, v34, v31
	v_mul_f32_e32 v31, 0xbe3c28d5, v23
	v_mov_b32_e32 v33, v31
	v_fmac_f32_e32 v33, 0xbf7ba420, v29
	v_add_f32_e32 v11, v11, v33
	v_mul_f32_e32 v33, 0xbe3c28d5, v22
	v_fma_f32 v34, v28, s23, -v33
	v_fma_f32 v31, v29, s23, -v31
	v_fmac_f32_e32 v33, 0xbf7ba420, v28
	v_add_f32_e32 v12, v12, v31
	v_add_f32_e32 v31, v36, v33
	v_mul_f32_e32 v33, 0x3f763a35, v23
	v_add_f32_e32 v32, v35, v32
	v_mov_b32_e32 v35, v33
	v_fma_f32 v33, v29, s20, -v33
	v_fmac_f32_e32 v35, 0xbe8c1d8e, v29
	v_mul_f32_e32 v36, 0x3f763a35, v22
	v_add_f32_e32 v33, v37, v33
	v_mul_f32_e32 v37, 0x3eb8f4ab, v23
	v_add_f32_e32 v34, v39, v34
	v_add_f32_e32 v35, v40, v35
	v_fma_f32 v39, v28, s20, -v36
	v_fmac_f32_e32 v36, 0xbe8c1d8e, v28
	v_mov_b32_e32 v40, v37
	v_fma_f32 v37, v29, s2, -v37
	v_add_f32_e32 v36, v41, v36
	v_fmac_f32_e32 v40, 0x3f6eb680, v29
	v_mul_f32_e32 v41, 0x3eb8f4ab, v22
	v_add_f32_e32 v37, v42, v37
	v_mul_f32_e32 v42, 0xbf65296c, v23
	v_add_f32_e32 v39, v45, v39
	v_add_f32_e32 v40, v43, v40
	v_fma_f32 v43, v28, s2, -v41
	v_fmac_f32_e32 v41, 0x3f6eb680, v28
	v_mov_b32_e32 v45, v42
	v_add_f32_e32 v41, v46, v41
	v_fmac_f32_e32 v45, 0x3ee437d1, v29
	v_mul_f32_e32 v46, 0xbf65296c, v22
	v_fma_f32 v42, v29, s12, -v42
	v_add_f32_e32 v45, v49, v45
	v_fma_f32 v49, v28, s12, -v46
	v_add_f32_e32 v42, v47, v42
	v_fmac_f32_e32 v46, 0x3ee437d1, v28
	v_mul_f32_e32 v47, 0xbf06c442, v23
	v_add_f32_e32 v46, v48, v46
	v_mov_b32_e32 v48, v47
	v_fmac_f32_e32 v48, 0xbf59a7d5, v29
	v_add_f32_e32 v48, v51, v48
	v_mul_f32_e32 v51, 0xbf06c442, v22
	v_add_f32_e32 v43, v55, v43
	v_fma_f32 v55, v28, s22, -v51
	v_fma_f32 v47, v29, s22, -v47
	v_fmac_f32_e32 v51, 0xbf59a7d5, v28
	v_add_f32_e32 v47, v50, v47
	v_add_f32_e32 v50, v56, v51
	v_mul_f32_e32 v51, 0x3f4c4adb, v23
	v_mov_b32_e32 v56, v51
	v_fmac_f32_e32 v56, 0xbf1a4643, v29
	v_add_f32_e32 v53, v53, v56
	v_mul_f32_e32 v56, 0x3f4c4adb, v22
	v_add_f32_e32 v49, v57, v49
	v_fma_f32 v57, v28, s21, -v56
	v_fma_f32 v51, v29, s21, -v51
	v_fmac_f32_e32 v56, 0xbf1a4643, v28
	v_mul_f32_e32 v23, 0x3f2c7751, v23
	v_add_f32_e32 v51, v52, v51
	v_add_f32_e32 v52, v58, v56
	v_mov_b32_e32 v56, v23
	v_fmac_f32_e32 v56, 0x3f3d2fb0, v29
	v_mul_f32_e32 v22, 0x3f2c7751, v22
	v_add_f32_e32 v54, v54, v56
	v_fma_f32 v56, v28, s3, -v22
	v_fmac_f32_e32 v22, 0x3f3d2fb0, v28
	v_fma_f32 v23, v29, s3, -v23
	v_add_f32_e32 v8, v8, v22
	v_mul_f32_e32 v22, 0xbf763a35, v18
	v_add_f32_e32 v7, v7, v23
	v_mov_b32_e32 v23, v22
	v_fmac_f32_e32 v23, 0xbe8c1d8e, v25
	v_add_f32_e32 v23, v27, v23
	v_mul_f32_e32 v27, 0xbf763a35, v17
	v_fma_f32 v28, v24, s20, -v27
	v_fma_f32 v22, v25, s20, -v22
	v_fmac_f32_e32 v27, 0xbe8c1d8e, v24
	v_add_f32_e32 v22, v26, v22
	v_add_f32_e32 v26, v30, v27
	v_mul_f32_e32 v27, 0x3f06c442, v18
	v_mov_b32_e32 v29, v27
	v_fmac_f32_e32 v29, 0xbf59a7d5, v25
	v_add_f32_e32 v11, v11, v29
	v_mul_f32_e32 v29, 0x3f06c442, v17
	v_fma_f32 v30, v24, s22, -v29
	v_fma_f32 v27, v25, s22, -v27
	v_fmac_f32_e32 v29, 0xbf59a7d5, v24
	v_add_f32_e32 v12, v12, v27
	v_add_f32_e32 v27, v31, v29
	v_mul_f32_e32 v29, 0x3f2c7751, v18
	v_mov_b32_e32 v31, v29
	v_fma_f32 v29, v25, s3, -v29
	v_add_f32_e32 v28, v32, v28
	v_fmac_f32_e32 v31, 0x3f3d2fb0, v25
	v_mul_f32_e32 v32, 0x3f2c7751, v17
	v_add_f32_e32 v29, v33, v29
	v_mul_f32_e32 v33, 0xbf65296c, v18
	v_add_f32_e32 v30, v34, v30
	v_add_f32_e32 v31, v35, v31
	v_fma_f32 v34, v24, s3, -v32
	v_fmac_f32_e32 v32, 0x3f3d2fb0, v24
	v_mov_b32_e32 v35, v33
	v_fma_f32 v33, v25, s12, -v33
	v_add_f32_e32 v32, v36, v32
	v_fmac_f32_e32 v35, 0x3ee437d1, v25
	v_mul_f32_e32 v36, 0xbf65296c, v17
	v_add_f32_e32 v33, v37, v33
	v_mul_f32_e32 v37, 0xbe3c28d5, v18
	v_add_f32_e32 v34, v39, v34
	v_add_f32_e32 v35, v40, v35
	v_fma_f32 v39, v24, s12, -v36
	v_fmac_f32_e32 v36, 0x3ee437d1, v24
	;; [unrolled: 11-line block ×4, first 2 shown]
	v_mov_b32_e32 v49, v47
	v_add_f32_e32 v46, v50, v46
	v_fmac_f32_e32 v49, 0x3f6eb680, v25
	v_mul_f32_e32 v50, 0xbeb8f4ab, v17
	v_add_f32_e32 v49, v53, v49
	v_fma_f32 v53, v24, s2, -v50
	v_fmac_f32_e32 v50, 0x3f6eb680, v24
	v_mul_f32_e32 v17, 0xbf4c4adb, v17
	v_fma_f32 v47, v25, s2, -v47
	v_add_f32_e32 v50, v52, v50
	v_mul_f32_e32 v18, 0xbf4c4adb, v18
	v_fma_f32 v52, v24, s21, -v17
	v_fmac_f32_e32 v17, 0xbf1a4643, v24
	v_add_f32_e32 v47, v51, v47
	v_mov_b32_e32 v51, v18
	v_fma_f32 v18, v25, s21, -v18
	v_add_f32_e32 v8, v8, v17
	v_mul_f32_e32 v17, 0xbf4c4adb, v16
	v_add_f32_e32 v7, v7, v18
	v_mov_b32_e32 v18, v17
	v_fmac_f32_e32 v18, 0xbf1a4643, v20
	v_add_f32_e32 v18, v23, v18
	v_mul_f32_e32 v23, 0xbf4c4adb, v15
	v_fma_f32 v24, v19, s21, -v23
	v_fma_f32 v17, v20, s21, -v17
	v_fmac_f32_e32 v23, 0xbf1a4643, v19
	v_add_f32_e32 v17, v22, v17
	v_add_f32_e32 v22, v26, v23
	v_mul_f32_e32 v23, 0x3f763a35, v16
	v_fmac_f32_e32 v51, 0xbf1a4643, v25
	v_mov_b32_e32 v25, v23
	v_fmac_f32_e32 v25, 0xbe8c1d8e, v20
	v_add_f32_e32 v11, v11, v25
	v_mul_f32_e32 v25, 0x3f763a35, v15
	v_fma_f32 v26, v19, s20, -v25
	v_fma_f32 v23, v20, s20, -v23
	v_fmac_f32_e32 v25, 0xbe8c1d8e, v19
	v_add_f32_e32 v12, v12, v23
	v_add_f32_e32 v23, v27, v25
	v_mul_f32_e32 v25, 0xbeb8f4ab, v16
	v_mov_b32_e32 v27, v25
	v_fma_f32 v25, v20, s2, -v25
	v_add_f32_e32 v24, v28, v24
	v_fmac_f32_e32 v27, 0x3f6eb680, v20
	v_mul_f32_e32 v28, 0xbeb8f4ab, v15
	v_add_f32_e32 v25, v29, v25
	v_mul_f32_e32 v29, 0xbf06c442, v16
	v_add_f32_e32 v26, v30, v26
	v_add_f32_e32 v27, v31, v27
	v_fma_f32 v30, v19, s2, -v28
	v_fmac_f32_e32 v28, 0x3f6eb680, v19
	v_mov_b32_e32 v31, v29
	v_fma_f32 v29, v20, s22, -v29
	v_add_f32_e32 v28, v32, v28
	v_fmac_f32_e32 v31, 0xbf59a7d5, v20
	v_mul_f32_e32 v32, 0xbf06c442, v15
	v_add_f32_e32 v29, v33, v29
	v_mul_f32_e32 v33, 0x3f7ee86f, v16
	v_add_f32_e32 v30, v34, v30
	v_add_f32_e32 v31, v35, v31
	v_fma_f32 v34, v19, s22, -v32
	v_fmac_f32_e32 v32, 0xbf59a7d5, v19
	;; [unrolled: 11-line block ×4, first 2 shown]
	v_mov_b32_e32 v45, v42
	v_add_f32_e32 v41, v46, v41
	v_fmac_f32_e32 v45, 0xbf7ba420, v20
	v_mul_f32_e32 v46, 0xbe3c28d5, v15
	v_mul_f32_e32 v15, 0x3f65296c, v15
	v_add_f32_e32 v45, v49, v45
	v_fma_f32 v42, v20, s23, -v42
	v_mul_f32_e32 v16, 0x3f65296c, v16
	v_fma_f32 v49, v19, s12, -v15
	v_fmac_f32_e32 v15, 0x3ee437d1, v19
	v_add_f32_e32 v42, v47, v42
	v_mov_b32_e32 v47, v16
	v_fma_f32 v16, v20, s12, -v16
	v_add_f32_e32 v8, v8, v15
	v_mul_f32_e32 v15, 0xbf06c442, v10
	v_add_f32_e32 v59, v63, v59
	v_add_f32_e32 v7, v7, v16
	v_mov_b32_e32 v16, v15
	v_add_f32_e32 v55, v59, v55
	v_fmac_f32_e32 v16, 0xbf59a7d5, v14
	v_add_f32_e32 v48, v55, v48
	v_add_f32_e32 v16, v18, v16
	v_mul_f32_e32 v18, 0xbf06c442, v9
	v_add_f32_e32 v43, v48, v43
	v_fma_f32 v48, v19, s23, -v46
	v_fmac_f32_e32 v46, 0xbf7ba420, v19
	v_fma_f32 v19, v13, s22, -v18
	v_fma_f32 v15, v14, s22, -v15
	v_fmac_f32_e32 v18, 0xbf59a7d5, v13
	v_add_f32_e32 v15, v17, v15
	v_add_f32_e32 v17, v22, v18
	v_mul_f32_e32 v18, 0x3f65296c, v10
	v_fmac_f32_e32 v47, 0x3ee437d1, v20
	v_mov_b32_e32 v20, v18
	v_fmac_f32_e32 v20, 0x3ee437d1, v14
	v_add_f32_e32 v11, v11, v20
	v_mul_f32_e32 v20, 0x3f65296c, v9
	v_fma_f32 v22, v13, s12, -v20
	v_fma_f32 v18, v14, s12, -v18
	v_fmac_f32_e32 v20, 0x3ee437d1, v13
	v_add_f32_e32 v12, v12, v18
	v_add_f32_e32 v18, v23, v20
	v_mul_f32_e32 v20, 0xbf7ee86f, v10
	v_mov_b32_e32 v23, v20
	v_fma_f32 v20, v14, s13, -v20
	v_add_f32_e32 v19, v24, v19
	v_fmac_f32_e32 v23, 0x3dbcf732, v14
	v_mul_f32_e32 v24, 0xbf7ee86f, v9
	v_add_f32_e32 v20, v25, v20
	v_mul_f32_e32 v25, 0x3f4c4adb, v10
	v_add_f32_e32 v22, v26, v22
	v_add_f32_e32 v23, v27, v23
	v_fma_f32 v26, v13, s13, -v24
	v_fmac_f32_e32 v24, 0x3dbcf732, v13
	v_mov_b32_e32 v27, v25
	v_fma_f32 v25, v14, s21, -v25
	v_add_f32_e32 v24, v28, v24
	v_fmac_f32_e32 v27, 0xbf1a4643, v14
	v_mul_f32_e32 v28, 0x3f4c4adb, v9
	v_add_f32_e32 v25, v29, v25
	v_mul_f32_e32 v29, 0xbeb8f4ab, v10
	v_add_f32_e32 v26, v30, v26
	v_add_f32_e32 v27, v31, v27
	v_fma_f32 v30, v13, s21, -v28
	v_fmac_f32_e32 v28, 0xbf1a4643, v13
	v_mov_b32_e32 v31, v29
	v_fma_f32 v29, v14, s2, -v29
	v_add_f32_e32 v28, v32, v28
	v_fmac_f32_e32 v31, 0x3f6eb680, v14
	v_mul_f32_e32 v32, 0xbeb8f4ab, v9
	v_add_f32_e32 v29, v33, v29
	v_mul_f32_e32 v33, 0xbe3c28d5, v10
	v_add_f32_e32 v64, v67, v64
	v_add_f32_e32 v30, v34, v30
	;; [unrolled: 1-line block ×3, first 2 shown]
	v_fma_f32 v34, v13, s2, -v32
	v_fmac_f32_e32 v32, 0x3f6eb680, v13
	v_mov_b32_e32 v35, v33
	v_fma_f32 v33, v14, s23, -v33
	v_add_f32_e32 v65, v65, v68
	v_add_f32_e32 v60, v64, v60
	;; [unrolled: 1-line block ×3, first 2 shown]
	v_fmac_f32_e32 v35, 0xbf7ba420, v14
	v_mul_f32_e32 v36, 0xbe3c28d5, v9
	v_add_f32_e32 v33, v37, v33
	v_mul_f32_e32 v37, 0x3f2c7751, v10
	v_add_f32_e32 v61, v65, v61
	v_add_f32_e32 v56, v60, v56
	;; [unrolled: 1-line block ×4, first 2 shown]
	v_fma_f32 v39, v13, s23, -v36
	v_fmac_f32_e32 v36, 0xbf7ba420, v13
	v_mov_b32_e32 v40, v37
	v_add_f32_e32 v57, v61, v57
	v_add_f32_e32 v52, v56, v52
	;; [unrolled: 1-line block ×3, first 2 shown]
	v_fmac_f32_e32 v40, 0x3f3d2fb0, v14
	v_mul_f32_e32 v41, 0x3f2c7751, v9
	v_mul_f32_e32 v9, 0xbf763a35, v9
	v_add_f32_e32 v53, v57, v53
	v_add_f32_e32 v49, v52, v49
	;; [unrolled: 1-line block ×3, first 2 shown]
	v_fma_f32 v37, v14, s3, -v37
	v_mul_f32_e32 v10, 0xbf763a35, v10
	v_fma_f32 v45, v13, s20, -v9
	v_add_f32_e32 v51, v54, v51
	v_add_f32_e32 v48, v53, v48
	;; [unrolled: 1-line block ×4, first 2 shown]
	v_fma_f32 v43, v13, s3, -v41
	v_add_f32_e32 v37, v42, v37
	v_fmac_f32_e32 v41, 0x3f3d2fb0, v13
	v_mov_b32_e32 v42, v10
	v_add_f32_e32 v45, v49, v45
	v_fma_f32 v10, v14, s20, -v10
	v_add_f32_e32 v49, v2, v4
	v_sub_f32_e32 v4, v2, v4
	v_add_f32_e32 v47, v51, v47
	v_add_f32_e32 v43, v48, v43
	;; [unrolled: 1-line block ×3, first 2 shown]
	v_fmac_f32_e32 v42, 0xbe8c1d8e, v14
	v_add_f32_e32 v46, v7, v10
	v_fmac_f32_e32 v9, 0xbe8c1d8e, v13
	v_add_f32_e32 v48, v1, v3
	v_mul_f32_e32 v7, 0xbe3c28d5, v4
	v_mul_f32_e32 v13, 0x3eb8f4ab, v4
	v_add_f32_e32 v42, v47, v42
	v_add_f32_e32 v47, v8, v9
	v_sub_f32_e32 v1, v1, v3
	v_mov_b32_e32 v2, v7
	v_fma_f32 v7, v48, s23, -v7
	v_mov_b32_e32 v9, v13
	v_mul_f32_e32 v8, 0xbe3c28d5, v1
	v_add_f32_e32 v7, v15, v7
	v_fmac_f32_e32 v9, 0x3f6eb680, v48
	v_mul_f32_e32 v15, 0xbf06c442, v4
	v_fmac_f32_e32 v2, 0xbf7ba420, v48
	v_fma_f32 v3, v49, s23, -v8
	v_add_f32_e32 v9, v11, v9
	v_mul_f32_e32 v14, 0x3eb8f4ab, v1
	v_fma_f32 v11, v48, s2, -v13
	v_mov_b32_e32 v13, v15
	v_fma_f32 v15, v48, s22, -v15
	v_add_f32_e32 v2, v16, v2
	v_add_f32_e32 v3, v19, v3
	v_fmac_f32_e32 v8, 0xbf7ba420, v49
	v_fma_f32 v10, v49, s2, -v14
	v_fmac_f32_e32 v14, 0x3f6eb680, v49
	v_mul_f32_e32 v16, 0xbf06c442, v1
	v_add_f32_e32 v15, v20, v15
	v_mul_f32_e32 v19, 0x3f2c7751, v4
	v_mul_f32_e32 v20, 0x3f2c7751, v1
	v_add_f32_e32 v8, v17, v8
	v_add_f32_e32 v11, v12, v11
	;; [unrolled: 1-line block ×3, first 2 shown]
	v_fma_f32 v14, v49, s22, -v16
	v_fmac_f32_e32 v16, 0xbf59a7d5, v49
	v_mov_b32_e32 v17, v19
	v_fma_f32 v18, v49, s3, -v20
	v_fma_f32 v19, v48, s3, -v19
	v_fmac_f32_e32 v20, 0x3f3d2fb0, v49
	v_fmac_f32_e32 v13, 0xbf59a7d5, v48
	v_add_f32_e32 v16, v24, v16
	v_add_f32_e32 v19, v25, v19
	;; [unrolled: 1-line block ×3, first 2 shown]
	v_mul_f32_e32 v24, 0xbf4c4adb, v4
	v_mul_f32_e32 v25, 0xbf4c4adb, v1
	;; [unrolled: 1-line block ×3, first 2 shown]
	s_load_dwordx2 s[0:1], s[18:19], 0x0
	v_add_f32_e32 v10, v22, v10
	v_add_f32_e32 v13, v23, v13
	;; [unrolled: 1-line block ×3, first 2 shown]
	v_mov_b32_e32 v22, v24
	v_fma_f32 v23, v49, s21, -v25
	v_fma_f32 v24, v48, s21, -v24
	v_fmac_f32_e32 v25, 0xbf1a4643, v49
	v_mov_b32_e32 v26, v28
	v_fma_f32 v28, v48, s12, -v28
	v_fmac_f32_e32 v17, 0x3f3d2fb0, v48
	v_add_f32_e32 v24, v29, v24
	v_add_f32_e32 v25, v32, v25
	v_fmac_f32_e32 v26, 0x3ee437d1, v48
	v_mul_f32_e32 v29, 0x3f65296c, v1
	v_add_f32_e32 v28, v33, v28
	v_mul_f32_e32 v32, 0xbf763a35, v4
	v_mul_f32_e32 v33, 0xbf763a35, v1
	;; [unrolled: 1-line block ×4, first 2 shown]
	v_add_f32_e32 v17, v27, v17
	v_add_f32_e32 v18, v30, v18
	;; [unrolled: 1-line block ×4, first 2 shown]
	v_fma_f32 v27, v49, s12, -v29
	v_fmac_f32_e32 v29, 0x3ee437d1, v49
	v_mov_b32_e32 v30, v32
	v_fma_f32 v32, v48, s20, -v32
	v_mov_b32_e32 v34, v4
	v_fma_f32 v35, v49, s13, -v1
	v_fma_f32 v4, v48, s13, -v4
	v_fmac_f32_e32 v1, 0x3dbcf732, v49
	v_fmac_f32_e32 v22, 0xbf1a4643, v48
	v_add_f32_e32 v29, v36, v29
	v_add_f32_e32 v32, v37, v32
	v_add_f32_e32 v36, v46, v4
	v_add_f32_e32 v37, v47, v1
	v_mul_u32_u24_e32 v4, 0x3b8, v38
	v_lshlrev_b32_e32 v1, 3, v44
	v_add_f32_e32 v22, v31, v22
	v_fmac_f32_e32 v30, 0xbe8c1d8e, v48
	v_fma_f32 v31, v49, s20, -v33
	v_fmac_f32_e32 v33, 0xbe8c1d8e, v49
	v_fmac_f32_e32 v34, 0x3dbcf732, v48
	v_add3_u32 v4, 0, v4, v1
	v_add_f32_e32 v27, v39, v27
	v_add_f32_e32 v30, v40, v30
	;; [unrolled: 1-line block ×6, first 2 shown]
	ds_write2_b64 v4, v[5:6], v[2:3] offset1:7
	ds_write2_b64 v4, v[9:10], v[13:14] offset0:14 offset1:21
	ds_write2_b64 v4, v[17:18], v[22:23] offset0:28 offset1:35
	;; [unrolled: 1-line block ×7, first 2 shown]
	ds_write_b64 v4, v[7:8] offset:896
	s_waitcnt lgkmcnt(0)
	s_barrier
	s_and_saveexec_b64 s[18:19], s[6:7]
	s_cbranch_execz .LBB0_16
; %bb.15:
	v_mul_lo_u16_e32 v2, 31, v38
	v_lshrrev_b16_e32 v2, 9, v2
	v_mul_lo_u16_e32 v2, 17, v2
	v_sub_u16_e32 v2, v38, v2
	v_and_b32_e32 v45, 0xff, v2
	v_lshlrev_b32_e32 v22, 7, v45
	global_load_dwordx4 v[13:16], v22, s[26:27] offset:48
	global_load_dwordx4 v[17:20], v22, s[26:27] offset:64
	;; [unrolled: 1-line block ×5, first 2 shown]
	v_mul_u32_u24_e32 v2, 56, v38
	v_add3_u32 v72, 0, v2, v1
	global_load_dwordx4 v[1:4], v22, s[26:27] offset:96
	v_add_u32_e32 v23, 0x1c00, v72
	v_add_u32_e32 v24, 0x1400, v72
	;; [unrolled: 1-line block ×5, first 2 shown]
	ds_read2_b64 v[56:59], v23 offset0:56 offset1:175
	ds_read2_b64 v[62:65], v24 offset0:74 offset1:193
	;; [unrolled: 1-line block ×5, first 2 shown]
	global_load_dwordx4 v[91:94], v22, s[26:27]
	global_load_dwordx4 v[95:98], v22, s[26:27] offset:112
	v_add_u32_e32 v25, 0xee, v45
	v_add_u32_e32 v23, 0x110, v45
	;; [unrolled: 1-line block ×5, first 2 shown]
	v_mul_lo_u32 v22, v21, v25
	v_mul_lo_u32 v81, v21, v23
	;; [unrolled: 1-line block ×5, first 2 shown]
	v_mov_b32_e32 v47, 3
	v_mov_b32_e32 v46, 0x1000
	v_bfe_u32 v23, v22, 16, 8
	v_lshlrev_b32_sdwa v52, v47, v22 dst_sel:DWORD dst_unused:UNUSED_PAD src0_sel:DWORD src1_sel:BYTE_1
	v_lshlrev_b32_sdwa v43, v47, v81 dst_sel:DWORD dst_unused:UNUSED_PAD src0_sel:DWORD src1_sel:BYTE_0
	v_lshlrev_b32_sdwa v48, v47, v81 dst_sel:DWORD dst_unused:UNUSED_PAD src0_sel:DWORD src1_sel:BYTE_1
	v_lshlrev_b32_sdwa v49, v47, v99 dst_sel:DWORD dst_unused:UNUSED_PAD src0_sel:DWORD src1_sel:BYTE_0
	;; [unrolled: 2-line block ×4, first 2 shown]
	v_lshlrev_b32_sdwa v55, v47, v80 dst_sel:DWORD dst_unused:UNUSED_PAD src0_sel:DWORD src1_sel:BYTE_1
	v_lshl_or_b32 v60, v23, 3, v46
	global_load_dwordx2 v[30:31], v52, s[16:17] offset:2048
	global_load_dwordx2 v[38:39], v43, s[16:17]
	global_load_dwordx2 v[40:41], v48, s[16:17] offset:2048
	global_load_dwordx2 v[34:35], v49, s[16:17]
	global_load_dwordx2 v[36:37], v50, s[16:17] offset:2048
	global_load_dwordx2 v[28:29], v53, s[16:17] offset:2048
	global_load_dwordx2 v[24:25], v54, s[16:17]
	global_load_dwordx2 v[26:27], v55, s[16:17] offset:2048
	global_load_dwordx2 v[32:33], v51, s[16:17]
	global_load_dwordx2 v[22:23], v60, s[16:17]
	v_lshlrev_b32_sdwa v70, v47, v42 dst_sel:DWORD dst_unused:UNUSED_PAD src0_sel:DWORD src1_sel:BYTE_0
	s_mul_i32 s1, s1, s24
	s_waitcnt vmcnt(17) lgkmcnt(3)
	v_mul_f32_e32 v51, v65, v14
	s_waitcnt vmcnt(16) lgkmcnt(2)
	v_mul_f32_e32 v50, v67, v20
	;; [unrolled: 2-line block ×3, first 2 shown]
	v_mul_f32_e32 v10, v84, v10
	v_mul_f32_e32 v20, v66, v20
	v_fmac_f32_e32 v50, v66, v19
	v_fmac_f32_e32 v54, v84, v9
	v_fma_f32 v66, v85, v9, -v10
	global_load_dwordx2 v[9:10], v70, s[16:17]
	v_mul_f32_e32 v53, v63, v12
	s_waitcnt vmcnt(15)
	v_mul_f32_e32 v52, v69, v6
	v_mul_f32_e32 v6, v68, v6
	;; [unrolled: 1-line block ×4, first 2 shown]
	v_fmac_f32_e32 v53, v62, v11
	v_fmac_f32_e32 v52, v68, v5
	v_fma_f32 v62, v69, v5, -v6
	s_waitcnt lgkmcnt(0)
	v_mul_f32_e32 v5, v86, v8
	v_fma_f32 v61, v65, v13, -v14
	v_fma_f32 v65, v87, v7, -v5
	s_waitcnt vmcnt(14)
	v_mul_f32_e32 v5, v82, v76
	v_fma_f32 v68, v83, v75, -v5
	v_add_u32_e32 v5, 0x400, v72
	v_fmac_f32_e32 v51, v64, v13
	v_fma_f32 v63, v63, v11, -v12
	ds_read2_b64 v[11:14], v5 offset0:110 offset1:229
	v_mul_f32_e32 v48, v57, v16
	v_mul_f32_e32 v16, v56, v16
	v_fmac_f32_e32 v48, v56, v15
	s_waitcnt vmcnt(13)
	v_mul_f32_e32 v56, v89, v2
	v_mul_f32_e32 v2, v88, v2
	;; [unrolled: 1-line block ×4, first 2 shown]
	v_fma_f32 v60, v67, v19, -v20
	v_fmac_f32_e32 v56, v88, v1
	v_fma_f32 v67, v89, v1, -v2
	v_add_u32_e32 v1, 0x3000, v72
	v_add_u32_e32 v2, 0xbb, v45
	v_fmac_f32_e32 v49, v58, v17
	v_fma_f32 v58, v57, v15, -v16
	v_fma_f32 v59, v59, v17, -v18
	ds_read2_b64 v[15:18], v1 offset0:130 offset1:249
	v_mul_lo_u32 v90, v21, v2
	s_waitcnt lgkmcnt(1)
	v_mul_f32_e32 v1, v74, v13
	v_fma_f32 v69, v14, v73, -v1
	v_bfe_u32 v1, v42, 16, 8
	v_lshl_or_b32 v1, v1, 3, v46
	global_load_dwordx2 v[5:6], v1, s[16:17]
	v_lshlrev_b32_sdwa v1, v47, v90 dst_sel:DWORD dst_unused:UNUSED_PAD src0_sel:DWORD src1_sel:BYTE_0
	v_lshlrev_b32_sdwa v2, v47, v90 dst_sel:DWORD dst_unused:UNUSED_PAD src0_sel:DWORD src1_sel:BYTE_1
	global_load_dwordx2 v[19:20], v1, s[16:17]
	global_load_dwordx2 v[42:43], v2, s[16:17] offset:2048
	s_waitcnt lgkmcnt(0)
	v_mul_f32_e32 v1, v15, v4
	v_mul_f32_e32 v64, v14, v74
	;; [unrolled: 1-line block ×3, first 2 shown]
	v_fma_f32 v74, v16, v3, -v1
	s_waitcnt vmcnt(15)
	v_mul_f32_e32 v1, v94, v11
	v_mul_f32_e32 v55, v87, v8
	v_fmac_f32_e32 v70, v15, v3
	v_fma_f32 v78, v93, v12, -v1
	ds_read2_b64 v[1:4], v72 offset1:119
	v_fmac_f32_e32 v55, v86, v7
	ds_read_b64 v[7:8], v72 offset:15232
	v_mul_f32_e32 v57, v83, v76
	v_fmac_f32_e32 v57, v82, v75
	s_waitcnt lgkmcnt(1)
	v_mul_f32_e32 v75, v92, v4
	v_fmac_f32_e32 v75, v91, v3
	s_waitcnt vmcnt(14) lgkmcnt(0)
	v_mul_f32_e32 v72, v8, v98
	v_mul_f32_e32 v3, v92, v3
	v_fmac_f32_e32 v72, v7, v97
	v_fma_f32 v79, v91, v4, -v3
	v_mul_f32_e32 v3, v7, v98
	v_add_u32_e32 v7, 0xaa, v45
	v_mul_lo_u32 v91, v21, v7
	v_fmac_f32_e32 v64, v73, v13
	v_mul_f32_e32 v73, v94, v12
	v_fmac_f32_e32 v73, v93, v11
	v_mul_f32_e32 v11, v17, v96
	v_add_u32_e32 v12, 0x99, v45
	v_fma_f32 v76, v18, v95, -v11
	v_fma_f32 v77, v8, v97, -v3
	v_bfe_u32 v3, v99, 16, 8
	v_bfe_u32 v7, v81, 16, 8
	s_waitcnt vmcnt(11)
	v_mul_f32_e32 v11, v39, v41
	v_mul_lo_u32 v94, v21, v12
	v_mul_f32_e32 v71, v18, v96
	v_lshl_or_b32 v3, v3, 3, v46
	v_lshl_or_b32 v7, v7, 3, v46
	v_fma_f32 v81, v38, v40, -v11
	v_lshlrev_b32_sdwa v11, v47, v91 dst_sel:DWORD dst_unused:UNUSED_PAD src0_sel:DWORD src1_sel:BYTE_0
	v_fmac_f32_e32 v71, v17, v95
	global_load_dwordx2 v[3:4], v3, s[16:17]
	v_mul_f32_e32 v82, v38, v41
	global_load_dwordx2 v[7:8], v7, s[16:17]
	v_fmac_f32_e32 v82, v39, v40
	global_load_dwordx2 v[95:96], v11, s[16:17]
	v_lshlrev_b32_sdwa v11, v47, v91 dst_sel:DWORD dst_unused:UNUSED_PAD src0_sel:DWORD src1_sel:BYTE_1
	global_load_dwordx2 v[97:98], v11, s[16:17] offset:2048
	s_waitcnt vmcnt(13)
	v_mul_f32_e32 v11, v35, v37
	v_fma_f32 v83, v34, v36, -v11
	v_lshlrev_b32_sdwa v11, v47, v94 dst_sel:DWORD dst_unused:UNUSED_PAD src0_sel:DWORD src1_sel:BYTE_0
	v_lshlrev_b32_sdwa v12, v47, v94 dst_sel:DWORD dst_unused:UNUSED_PAD src0_sel:DWORD src1_sel:BYTE_1
	global_load_dwordx2 v[38:39], v11, s[16:17]
	global_load_dwordx2 v[40:41], v12, s[16:17] offset:2048
	v_add_u32_e32 v11, 0x88, v45
	v_mul_lo_u32 v99, v21, v11
	s_waitcnt vmcnt(11)
	v_mul_f32_e32 v11, v33, v31
	v_mul_f32_e32 v84, v34, v37
	v_fma_f32 v85, v32, v30, -v11
	v_lshlrev_b32_sdwa v11, v47, v99 dst_sel:DWORD dst_unused:UNUSED_PAD src0_sel:DWORD src1_sel:BYTE_0
	v_fmac_f32_e32 v84, v35, v36
	v_lshlrev_b32_sdwa v12, v47, v99 dst_sel:DWORD dst_unused:UNUSED_PAD src0_sel:DWORD src1_sel:BYTE_1
	global_load_dwordx2 v[34:35], v11, s[16:17]
	global_load_dwordx2 v[36:37], v12, s[16:17] offset:2048
	v_add_u32_e32 v11, 0x77, v45
	v_mul_lo_u32 v100, v21, v11
	s_waitcnt vmcnt(11)
	v_mul_f32_e32 v11, v10, v29
	v_fma_f32 v87, v9, v28, -v11
	v_mul_f32_e32 v88, v9, v29
	v_lshlrev_b32_sdwa v12, v47, v100 dst_sel:DWORD dst_unused:UNUSED_PAD src0_sel:DWORD src1_sel:BYTE_0
	v_lshlrev_b32_sdwa v13, v47, v100 dst_sel:DWORD dst_unused:UNUSED_PAD src0_sel:DWORD src1_sel:BYTE_1
	global_load_dwordx2 v[101:102], v12, s[16:17]
	global_load_dwordx2 v[103:104], v13, s[16:17] offset:2048
	v_add_u32_e32 v12, 0x66, v45
	v_mul_lo_u32 v121, v21, v12
	v_fmac_f32_e32 v88, v10, v28
	v_add_u32_e32 v10, 0x55, v45
	v_mul_lo_u32 v122, v21, v10
	v_lshlrev_b32_sdwa v9, v47, v121 dst_sel:DWORD dst_unused:UNUSED_PAD src0_sel:DWORD src1_sel:BYTE_0
	global_load_dwordx2 v[105:106], v9, s[16:17]
	v_lshlrev_b32_sdwa v9, v47, v121 dst_sel:DWORD dst_unused:UNUSED_PAD src0_sel:DWORD src1_sel:BYTE_1
	global_load_dwordx2 v[107:108], v9, s[16:17] offset:2048
	v_add_u32_e32 v11, 0x44, v45
	v_lshlrev_b32_sdwa v9, v47, v122 dst_sel:DWORD dst_unused:UNUSED_PAD src0_sel:DWORD src1_sel:BYTE_0
	v_mul_lo_u32 v123, v21, v11
	v_lshlrev_b32_sdwa v10, v47, v122 dst_sel:DWORD dst_unused:UNUSED_PAD src0_sel:DWORD src1_sel:BYTE_1
	global_load_dwordx2 v[109:110], v9, s[16:17]
	global_load_dwordx2 v[111:112], v10, s[16:17] offset:2048
	v_add_u32_e32 v9, 51, v45
	v_mul_lo_u32 v124, v21, v9
	v_lshlrev_b32_sdwa v9, v47, v123 dst_sel:DWORD dst_unused:UNUSED_PAD src0_sel:DWORD src1_sel:BYTE_0
	v_lshlrev_b32_sdwa v10, v47, v123 dst_sel:DWORD dst_unused:UNUSED_PAD src0_sel:DWORD src1_sel:BYTE_1
	global_load_dwordx2 v[113:114], v9, s[16:17]
	global_load_dwordx2 v[115:116], v10, s[16:17] offset:2048
	v_add_u32_e32 v9, 34, v45
	v_mul_lo_u32 v125, v21, v9
	v_lshlrev_b32_sdwa v9, v47, v124 dst_sel:DWORD dst_unused:UNUSED_PAD src0_sel:DWORD src1_sel:BYTE_0
	;; [unrolled: 6-line block ×3, first 2 shown]
	global_load_dwordx2 v[11:12], v9, s[16:17]
	v_lshlrev_b32_sdwa v9, v47, v125 dst_sel:DWORD dst_unused:UNUSED_PAD src0_sel:DWORD src1_sel:BYTE_1
	v_mul_f32_e32 v86, v32, v31
	global_load_dwordx2 v[15:16], v9, s[16:17] offset:2048
	v_lshlrev_b32_sdwa v9, v47, v89 dst_sel:DWORD dst_unused:UNUSED_PAD src0_sel:DWORD src1_sel:BYTE_0
	v_fmac_f32_e32 v86, v33, v30
	v_lshlrev_b32_sdwa v10, v47, v89 dst_sel:DWORD dst_unused:UNUSED_PAD src0_sel:DWORD src1_sel:BYTE_1
	global_load_dwordx2 v[13:14], v9, s[16:17]
	global_load_dwordx2 v[17:18], v10, s[16:17] offset:2048
	v_bfe_u32 v9, v90, 16, 8
	v_mul_f32_e32 v30, v25, v27
	v_mul_f32_e32 v90, v24, v27
	v_bfe_u32 v28, v80, 16, 8
	v_fma_f32 v80, v24, v26, -v30
	v_fmac_f32_e32 v90, v25, v26
	s_waitcnt vmcnt(22)
	v_mul_f32_e32 v26, v20, v43
	v_bfe_u32 v24, v91, 16, 8
	v_fma_f32 v92, v19, v42, -v26
	v_mul_f32_e32 v93, v19, v43
	v_bfe_u32 v19, v94, 16, 8
	v_lshl_or_b32 v9, v9, 3, v46
	v_lshl_or_b32 v24, v24, 3, v46
	;; [unrolled: 1-line block ×3, first 2 shown]
	global_load_dwordx2 v[9:10], v9, s[16:17]
	v_lshl_or_b32 v28, v28, 3, v46
	global_load_dwordx2 v[26:27], v19, s[16:17]
	v_fmac_f32_e32 v93, v20, v42
	global_load_dwordx2 v[24:25], v24, s[16:17]
	v_bfe_u32 v20, v124, 16, 8
	global_load_dwordx2 v[28:29], v28, s[16:17]
	v_lshl_or_b32 v20, v20, 3, v46
	s_waitcnt vmcnt(22)
	v_mul_f32_e32 v19, v96, v98
	v_fma_f32 v94, v95, v97, -v19
	v_mul_f32_e32 v95, v95, v98
	v_fmac_f32_e32 v95, v96, v97
	v_sub_f32_e32 v146, v75, v72
	s_waitcnt vmcnt(20)
	v_mul_f32_e32 v19, v39, v41
	v_fma_f32 v96, v38, v40, -v19
	v_bfe_u32 v19, v100, 16, 8
	v_lshl_or_b32 v19, v19, 3, v46
	global_load_dwordx2 v[30:31], v19, s[16:17]
	v_bfe_u32 v19, v99, 16, 8
	v_lshl_or_b32 v19, v19, 3, v46
	global_load_dwordx2 v[32:33], v19, s[16:17]
	v_mul_f32_e32 v97, v38, v41
	s_waitcnt vmcnt(20)
	v_mul_f32_e32 v19, v35, v37
	v_fma_f32 v98, v34, v36, -v19
	v_bfe_u32 v19, v121, 16, 8
	v_mul_f32_e32 v99, v34, v37
	v_lshl_or_b32 v19, v19, 3, v46
	v_fmac_f32_e32 v99, v35, v36
	global_load_dwordx2 v[34:35], v19, s[16:17]
	v_fmac_f32_e32 v97, v39, v40
	s_waitcnt vmcnt(19)
	v_mul_f32_e32 v19, v102, v104
	v_fma_f32 v100, v101, v103, -v19
	v_bfe_u32 v19, v122, 16, 8
	v_lshl_or_b32 v19, v19, 3, v46
	global_load_dwordx2 v[36:37], v19, s[16:17]
	v_bfe_u32 v19, v123, 16, 8
	v_lshl_or_b32 v19, v19, 3, v46
	v_mul_f32_e32 v101, v101, v104
	global_load_dwordx2 v[38:39], v20, s[16:17]
	global_load_dwordx2 v[40:41], v19, s[16:17]
	s_waitcnt vmcnt(20)
	v_mul_f32_e32 v19, v106, v108
	v_fmac_f32_e32 v101, v102, v103
	v_fma_f32 v102, v105, v107, -v19
	v_bfe_u32 v19, v125, 16, 8
	v_lshl_or_b32 v19, v19, 3, v46
	global_load_dwordx2 v[42:43], v19, s[16:17]
	s_waitcnt vmcnt(19)
	v_mul_f32_e32 v19, v110, v112
	v_mul_f32_e32 v103, v105, v108
	v_fma_f32 v104, v109, v111, -v19
	v_fmac_f32_e32 v103, v106, v107
	s_waitcnt vmcnt(17)
	v_mul_f32_e32 v19, v114, v116
	v_fma_f32 v106, v113, v115, -v19
	v_mul_f32_e32 v107, v113, v116
	v_mul_f32_e32 v105, v109, v112
	v_fmac_f32_e32 v105, v110, v111
	s_waitcnt vmcnt(15)
	v_mul_f32_e32 v19, v118, v120
	v_fma_f32 v108, v117, v119, -v19
	v_bfe_u32 v19, v89, 16, 8
	v_fmac_f32_e32 v107, v114, v115
	v_mul_f32_e32 v109, v117, v120
	v_fmac_f32_e32 v109, v118, v119
	v_sub_f32_e32 v145, v73, v71
	s_waitcnt vmcnt(13)
	v_mul_f32_e32 v89, v12, v16
	v_fma_f32 v116, v11, v15, -v89
	v_mul_f32_e32 v11, v11, v16
	v_fmac_f32_e32 v11, v12, v15
	s_waitcnt vmcnt(11)
	v_mul_f32_e32 v12, v14, v18
	v_fma_f32 v89, v13, v17, -v12
	v_mul_f32_e32 v12, v82, v8
	v_mul_f32_e32 v8, v81, v8
	;; [unrolled: 1-line block ×3, first 2 shown]
	v_fma_f32 v12, v7, v81, -v12
	v_fmac_f32_e32 v8, v7, v82
	v_mul_f32_e32 v7, v84, v4
	v_mul_f32_e32 v13, v83, v4
	v_fma_f32 v7, v3, v83, -v7
	v_fmac_f32_e32 v13, v3, v84
	v_mul_f32_e32 v3, v86, v23
	v_fmac_f32_e32 v91, v14, v17
	v_fma_f32 v14, v22, v85, -v3
	v_mul_f32_e32 v3, v88, v6
	v_fma_f32 v16, v5, v87, -v3
	v_mul_f32_e32 v15, v85, v23
	s_waitcnt vmcnt(9)
	v_mul_f32_e32 v17, v96, v27
	v_fmac_f32_e32 v15, v22, v86
	s_waitcnt vmcnt(8)
	v_mul_f32_e32 v144, v94, v25
	v_fmac_f32_e32 v144, v24, v95
	s_waitcnt vmcnt(7)
	v_mul_f32_e32 v3, v90, v29
	v_fma_f32 v139, v28, v80, -v3
	v_mul_f32_e32 v3, v93, v10
	v_fma_f32 v141, v9, v92, -v3
	;; [unrolled: 2-line block ×4, first 2 shown]
	v_mul_f32_e32 v140, v80, v29
	v_mul_f32_e32 v29, 0xbeb8f4ab, v146
	v_fmac_f32_e32 v17, v26, v97
	s_waitcnt vmcnt(6)
	v_mul_f32_e32 v24, v100, v31
	v_fmac_f32_e32 v24, v30, v101
	v_mul_f32_e32 v26, 0xbf2c7751, v145
	s_waitcnt vmcnt(5)
	v_mul_f32_e32 v3, v99, v33
	v_fma_f32 v25, v32, v98, -v3
	v_mul_f32_e32 v3, v101, v31
	v_fma_f32 v122, v30, v100, -v3
	v_mul_f32_e32 v22, v98, v33
	v_add_f32_e32 v30, v79, v77
	v_mov_b32_e32 v4, v29
	v_fmac_f32_e32 v140, v28, v90
	s_waitcnt vmcnt(4)
	v_mul_f32_e32 v3, v103, v35
	v_fma_f32 v114, v34, v102, -v3
	v_add_f32_e32 v27, v78, v76
	v_fmac_f32_e32 v4, 0x3f6eb680, v30
	v_sub_f32_e32 v147, v64, v70
	v_fmac_f32_e32 v22, v32, v99
	s_waitcnt vmcnt(3)
	v_mul_f32_e32 v3, v105, v37
	v_fma_f32 v112, v36, v104, -v3
	v_add_f32_e32 v4, v4, v2
	v_mul_f32_e32 v32, 0xbf65296c, v147
	s_waitcnt vmcnt(1)
	v_mul_f32_e32 v3, v107, v41
	v_fma_f32 v110, v40, v106, -v3
	v_mul_f32_e32 v3, v109, v39
	v_fma_f32 v98, v38, v108, -v3
	v_mul_f32_e32 v115, v102, v35
	v_add_f32_e32 v33, v69, v74
	s_waitcnt vmcnt(0)
	v_mul_f32_e32 v3, v11, v43
	v_fma_f32 v28, v42, v116, -v3
	v_mov_b32_e32 v3, v26
	v_fmac_f32_e32 v3, 0x3f3d2fb0, v27
	v_add_f32_e32 v3, v3, v4
	v_mov_b32_e32 v4, v32
	v_sub_f32_e32 v148, v57, v56
	v_fmac_f32_e32 v115, v34, v103
	v_fmac_f32_e32 v4, 0x3ee437d1, v33
	v_mul_f32_e32 v34, 0xbf7ee86f, v148
	v_mul_f32_e32 v113, v104, v37
	v_add_f32_e32 v3, v4, v3
	v_add_f32_e32 v35, v68, v67
	v_mov_b32_e32 v4, v34
	v_sub_f32_e32 v149, v54, v55
	v_fmac_f32_e32 v113, v36, v105
	v_fmac_f32_e32 v4, 0x3dbcf732, v35
	v_mul_f32_e32 v36, 0xbf763a35, v149
	v_mul_f32_e32 v111, v106, v41
	v_add_f32_e32 v3, v4, v3
	v_add_f32_e32 v37, v66, v65
	v_mov_b32_e32 v4, v36
	v_sub_f32_e32 v150, v53, v52
	v_fmac_f32_e32 v111, v40, v107
	v_fmac_f32_e32 v4, 0xbe8c1d8e, v37
	v_mul_f32_e32 v40, 0xbf4c4adb, v150
	v_add_f32_e32 v3, v4, v3
	v_add_f32_e32 v41, v63, v62
	v_mov_b32_e32 v4, v40
	v_sub_f32_e32 v151, v51, v50
	v_fmac_f32_e32 v4, 0xbf1a4643, v41
	v_mul_f32_e32 v81, 0xbf06c442, v151
	v_add_f32_e32 v3, v4, v3
	v_add_f32_e32 v82, v61, v60
	v_mov_b32_e32 v4, v81
	v_sub_f32_e32 v152, v48, v49
	v_mul_f32_e32 v18, v87, v6
	v_fmac_f32_e32 v4, 0xbf59a7d5, v82
	v_mul_f32_e32 v86, 0xbe3c28d5, v152
	v_fmac_f32_e32 v18, v5, v88
	v_mul_f32_e32 v99, v108, v39
	v_add_f32_e32 v3, v4, v3
	v_add_f32_e32 v88, v58, v59
	v_mov_b32_e32 v4, v86
	v_sub_f32_e32 v153, v79, v77
	v_fmac_f32_e32 v99, v38, v109
	v_mul_f32_e32 v31, v116, v43
	v_fmac_f32_e32 v4, 0xbf7ba420, v88
	v_add_f32_e32 v38, v75, v72
	v_mul_f32_e32 v39, 0xbeb8f4ab, v153
	v_sub_f32_e32 v154, v78, v76
	v_fmac_f32_e32 v31, v42, v11
	v_add_f32_e32 v3, v4, v3
	v_fma_f32 v4, v38, s2, -v39
	v_add_f32_e32 v43, v73, v71
	v_mul_f32_e32 v42, 0xbf2c7751, v154
	v_sub_f32_e32 v155, v69, v74
	v_add_f32_e32 v4, v4, v1
	v_fma_f32 v5, v43, s3, -v42
	v_add_f32_e32 v83, v64, v70
	v_mul_f32_e32 v80, 0xbf65296c, v155
	v_sub_f32_e32 v156, v68, v67
	;; [unrolled: 5-line block ×3, first 2 shown]
	v_mul_f32_e32 v142, v92, v10
	v_add_f32_e32 v4, v5, v4
	v_fma_f32 v5, v87, s13, -v84
	v_add_f32_e32 v92, v54, v55
	v_mul_f32_e32 v85, 0xbf763a35, v157
	v_sub_f32_e32 v158, v63, v62
	v_add_f32_e32 v4, v5, v4
	v_fma_f32 v5, v92, s20, -v85
	v_add_f32_e32 v95, v53, v52
	v_mul_f32_e32 v90, 0xbf4c4adb, v158
	v_sub_f32_e32 v159, v61, v60
	v_fmac_f32_e32 v142, v9, v93
	v_add_f32_e32 v4, v5, v4
	v_fma_f32 v5, v95, s21, -v90
	v_add_f32_e32 v96, v51, v50
	v_mul_f32_e32 v93, 0xbf06c442, v159
	v_sub_f32_e32 v160, v58, v59
	v_add_f32_e32 v4, v5, v4
	v_fma_f32 v5, v96, s22, -v93
	v_add_f32_e32 v97, v48, v49
	v_mul_f32_e32 v94, 0xbe3c28d5, v160
	v_add_f32_e32 v4, v5, v4
	v_fma_f32 v5, v97, s23, -v94
	v_add_f32_e32 v5, v5, v4
	v_mul_f32_e32 v4, v5, v8
	v_mul_f32_e32 v109, 0xbf2c7751, v146
	v_fma_f32 v4, v3, v12, -v4
	v_mul_f32_e32 v3, v3, v8
	v_mul_f32_e32 v108, 0xbf7ee86f, v145
	v_mov_b32_e32 v6, v109
	v_fmac_f32_e32 v3, v5, v12
	v_mov_b32_e32 v5, v108
	v_fmac_f32_e32 v6, 0x3f3d2fb0, v30
	v_fmac_f32_e32 v5, 0x3dbcf732, v27
	v_add_f32_e32 v6, v6, v2
	v_mul_f32_e32 v116, 0xbf4c4adb, v147
	v_add_f32_e32 v5, v5, v6
	v_mov_b32_e32 v6, v116
	v_fmac_f32_e32 v6, 0xbf1a4643, v33
	v_mul_f32_e32 v117, 0xbe3c28d5, v148
	v_add_f32_e32 v5, v6, v5
	v_mov_b32_e32 v6, v117
	v_fmac_f32_e32 v6, 0xbf7ba420, v35
	;; [unrolled: 4-line block ×6, first 2 shown]
	v_mul_f32_e32 v106, 0xbf2c7751, v153
	v_add_f32_e32 v5, v6, v5
	v_fma_f32 v6, v38, s3, -v106
	v_mul_f32_e32 v107, 0xbf7ee86f, v154
	v_add_f32_e32 v6, v6, v1
	v_fma_f32 v8, v43, s13, -v107
	;; [unrolled: 3-line block ×8, first 2 shown]
	v_add_f32_e32 v8, v8, v6
	v_mul_f32_e32 v6, v8, v13
	v_fma_f32 v6, v5, v7, -v6
	v_mul_f32_e32 v5, v5, v13
	v_mul_f32_e32 v124, 0xbf65296c, v146
	v_fmac_f32_e32 v5, v8, v7
	v_mul_f32_e32 v123, 0xbf4c4adb, v145
	v_mov_b32_e32 v8, v124
	v_mov_b32_e32 v7, v123
	v_fmac_f32_e32 v8, 0x3ee437d1, v30
	v_fmac_f32_e32 v7, 0xbf1a4643, v27
	v_add_f32_e32 v8, v8, v2
	v_mul_f32_e32 v125, 0x3e3c28d5, v147
	v_add_f32_e32 v7, v7, v8
	v_mov_b32_e32 v8, v125
	v_fmac_f32_e32 v8, 0xbf7ba420, v33
	v_mul_f32_e32 v126, 0x3f763a35, v148
	v_add_f32_e32 v7, v8, v7
	v_mov_b32_e32 v8, v126
	v_fmac_f32_e32 v8, 0xbe8c1d8e, v35
	;; [unrolled: 4-line block ×6, first 2 shown]
	v_mul_f32_e32 v131, 0xbf65296c, v153
	v_add_f32_e32 v7, v8, v7
	v_fma_f32 v8, v38, s12, -v131
	v_mul_f32_e32 v132, 0xbf4c4adb, v154
	v_add_f32_e32 v8, v8, v1
	v_fma_f32 v9, v43, s21, -v132
	;; [unrolled: 3-line block ×8, first 2 shown]
	v_add_f32_e32 v9, v9, v8
	v_mul_f32_e32 v8, v9, v15
	v_mul_f32_e32 v162, 0xbf7ee86f, v146
	v_fma_f32 v8, v7, v14, -v8
	v_mul_f32_e32 v7, v7, v15
	v_mul_f32_e32 v161, 0xbe3c28d5, v145
	v_mov_b32_e32 v10, v162
	v_fmac_f32_e32 v7, v9, v14
	v_mov_b32_e32 v9, v161
	v_fmac_f32_e32 v10, 0x3dbcf732, v30
	v_fmac_f32_e32 v9, 0xbf7ba420, v27
	v_add_f32_e32 v10, v10, v2
	v_mul_f32_e32 v163, 0x3f763a35, v147
	v_add_f32_e32 v9, v9, v10
	v_mov_b32_e32 v10, v163
	v_fmac_f32_e32 v10, 0xbe8c1d8e, v33
	v_mul_f32_e32 v164, 0x3eb8f4ab, v148
	v_add_f32_e32 v9, v10, v9
	v_mov_b32_e32 v10, v164
	v_fmac_f32_e32 v10, 0x3f6eb680, v35
	;; [unrolled: 4-line block ×6, first 2 shown]
	v_mul_f32_e32 v169, 0xbf7ee86f, v153
	v_add_f32_e32 v9, v10, v9
	v_fma_f32 v10, v38, s13, -v169
	v_mul_f32_e32 v170, 0xbe3c28d5, v154
	v_add_f32_e32 v10, v10, v1
	v_fma_f32 v11, v43, s23, -v170
	;; [unrolled: 3-line block ×8, first 2 shown]
	v_add_f32_e32 v11, v11, v10
	v_mul_f32_e32 v10, v11, v18
	v_mul_f32_e32 v178, 0xbf763a35, v146
	v_fma_f32 v10, v9, v16, -v10
	v_mul_f32_e32 v9, v9, v18
	v_mul_f32_e32 v177, 0x3f06c442, v145
	v_mov_b32_e32 v12, v178
	v_fmac_f32_e32 v9, v11, v16
	v_mov_b32_e32 v11, v177
	v_fmac_f32_e32 v12, 0xbe8c1d8e, v30
	v_fmac_f32_e32 v11, 0xbf59a7d5, v27
	v_add_f32_e32 v12, v12, v2
	v_mul_f32_e32 v179, 0x3f2c7751, v147
	v_add_f32_e32 v11, v11, v12
	v_mov_b32_e32 v12, v179
	v_fmac_f32_e32 v12, 0x3f3d2fb0, v33
	v_mul_f32_e32 v180, 0xbf65296c, v148
	v_add_f32_e32 v11, v12, v11
	v_mov_b32_e32 v12, v180
	v_fmac_f32_e32 v12, 0x3ee437d1, v35
	v_mul_f32_e32 v181, 0xbe3c28d5, v149
	v_add_f32_e32 v11, v12, v11
	v_mov_b32_e32 v12, v181
	v_fmac_f32_e32 v12, 0xbf7ba420, v37
	v_mul_f32_e32 v182, 0x3f7ee86f, v150
	v_add_f32_e32 v11, v12, v11
	v_mov_b32_e32 v12, v182
	v_fmac_f32_e32 v12, 0x3dbcf732, v41
	v_mul_f32_e32 v183, 0xbeb8f4ab, v151
	v_add_f32_e32 v11, v12, v11
	v_mov_b32_e32 v12, v183
	v_fmac_f32_e32 v12, 0x3f6eb680, v82
	v_mul_f32_e32 v184, 0xbf4c4adb, v152
	v_add_f32_e32 v11, v12, v11
	v_mov_b32_e32 v12, v184
	v_fmac_f32_e32 v12, 0xbf1a4643, v88
	v_mul_f32_e32 v185, 0xbf763a35, v153
	v_add_f32_e32 v11, v12, v11
	v_fma_f32 v12, v38, s20, -v185
	v_mul_f32_e32 v186, 0x3f06c442, v154
	v_add_f32_e32 v12, v12, v1
	v_fma_f32 v13, v43, s22, -v186
	v_mul_f32_e32 v187, 0x3f2c7751, v155
	v_add_f32_e32 v12, v13, v12
	v_fma_f32 v13, v83, s3, -v187
	v_mul_f32_e32 v188, 0xbf65296c, v156
	v_add_f32_e32 v12, v13, v12
	v_fma_f32 v13, v87, s12, -v188
	v_mul_f32_e32 v189, 0xbe3c28d5, v157
	v_add_f32_e32 v12, v13, v12
	v_fma_f32 v13, v92, s23, -v189
	v_mul_f32_e32 v190, 0x3f7ee86f, v158
	v_add_f32_e32 v12, v13, v12
	v_fma_f32 v13, v95, s13, -v190
	v_mul_f32_e32 v191, 0xbeb8f4ab, v159
	v_add_f32_e32 v12, v13, v12
	v_fma_f32 v13, v96, s2, -v191
	v_mul_f32_e32 v192, 0xbf4c4adb, v160
	v_add_f32_e32 v12, v13, v12
	v_fma_f32 v13, v97, s21, -v192
	v_add_f32_e32 v13, v13, v12
	v_mul_f32_e32 v12, v13, v140
	v_fma_f32 v12, v11, v139, -v12
	v_mul_f32_e32 v11, v11, v140
	v_mul_f32_e32 v140, 0xbf4c4adb, v146
	v_fmac_f32_e32 v11, v13, v139
	v_mul_f32_e32 v139, 0x3f763a35, v145
	v_mov_b32_e32 v14, v140
	v_mov_b32_e32 v13, v139
	v_fmac_f32_e32 v14, 0xbf1a4643, v30
	v_fmac_f32_e32 v13, 0xbe8c1d8e, v27
	v_add_f32_e32 v14, v14, v2
	v_mul_f32_e32 v193, 0xbeb8f4ab, v147
	v_add_f32_e32 v13, v13, v14
	v_mov_b32_e32 v14, v193
	v_fmac_f32_e32 v14, 0x3f6eb680, v33
	v_mul_f32_e32 v194, 0xbf06c442, v148
	v_add_f32_e32 v13, v14, v13
	v_mov_b32_e32 v14, v194
	v_fmac_f32_e32 v14, 0xbf59a7d5, v35
	v_mul_f32_e32 v195, 0x3f7ee86f, v149
	v_add_f32_e32 v13, v14, v13
	v_mov_b32_e32 v14, v195
	v_fmac_f32_e32 v14, 0x3dbcf732, v37
	v_mul_f32_e32 v196, 0xbf2c7751, v150
	v_add_f32_e32 v13, v14, v13
	v_mov_b32_e32 v14, v196
	v_fmac_f32_e32 v14, 0x3f3d2fb0, v41
	v_mul_f32_e32 v197, 0xbe3c28d5, v151
	v_add_f32_e32 v13, v14, v13
	v_mov_b32_e32 v14, v197
	v_fmac_f32_e32 v14, 0xbf7ba420, v82
	v_mul_f32_e32 v198, 0x3f65296c, v152
	v_add_f32_e32 v13, v14, v13
	v_mov_b32_e32 v14, v198
	v_fmac_f32_e32 v14, 0x3ee437d1, v88
	v_mul_f32_e32 v199, 0xbf4c4adb, v153
	v_add_f32_e32 v13, v14, v13
	v_fma_f32 v14, v38, s21, -v199
	v_mul_f32_e32 v200, 0x3f763a35, v154
	v_add_f32_e32 v14, v14, v1
	v_fma_f32 v15, v43, s20, -v200
	v_mul_f32_e32 v201, 0xbeb8f4ab, v155
	v_add_f32_e32 v14, v15, v14
	v_fma_f32 v15, v83, s2, -v201
	v_mul_f32_e32 v202, 0xbf06c442, v156
	v_add_f32_e32 v14, v15, v14
	v_fma_f32 v15, v87, s22, -v202
	v_mul_f32_e32 v203, 0x3f7ee86f, v157
	v_add_f32_e32 v14, v15, v14
	v_fma_f32 v15, v92, s13, -v203
	v_mul_f32_e32 v204, 0xbf2c7751, v158
	v_add_f32_e32 v14, v15, v14
	v_fma_f32 v15, v95, s3, -v204
	v_mul_f32_e32 v205, 0xbe3c28d5, v159
	v_add_f32_e32 v14, v15, v14
	v_fma_f32 v15, v96, s23, -v205
	v_mul_f32_e32 v206, 0x3f65296c, v160
	v_add_f32_e32 v14, v15, v14
	v_fma_f32 v15, v97, s12, -v206
	v_add_f32_e32 v15, v15, v14
	v_mul_f32_e32 v14, v15, v142
	v_fma_f32 v14, v13, v141, -v14
	v_mul_f32_e32 v13, v13, v142
	v_mul_f32_e32 v142, 0xbf06c442, v146
	v_fmac_f32_e32 v13, v15, v141
	v_mul_f32_e32 v141, 0x3f65296c, v145
	v_mov_b32_e32 v16, v142
	;; [unrolled: 60-line block ×3, first 2 shown]
	v_mov_b32_e32 v18, v143
	v_fmac_f32_e32 v145, 0xbf7ba420, v30
	v_fmac_f32_e32 v18, 0x3f6eb680, v27
	v_add_f32_e32 v145, v145, v2
	v_add_f32_e32 v18, v18, v145
	v_mul_f32_e32 v145, 0xbf06c442, v147
	v_mov_b32_e32 v146, v145
	v_fmac_f32_e32 v146, 0xbf59a7d5, v33
	v_add_f32_e32 v18, v146, v18
	v_mul_f32_e32 v146, 0x3f2c7751, v148
	v_mov_b32_e32 v147, v146
	v_fmac_f32_e32 v147, 0x3f3d2fb0, v35
	;; [unrolled: 4-line block ×6, first 2 shown]
	v_mul_f32_e32 v153, 0xbe3c28d5, v153
	v_add_f32_e32 v151, v151, v18
	v_mul_f32_e32 v152, 0x3eb8f4ab, v154
	v_fma_f32 v18, v38, s23, -v153
	v_add_f32_e32 v18, v18, v1
	v_fma_f32 v154, v43, s2, -v152
	v_add_f32_e32 v18, v154, v18
	v_mul_f32_e32 v154, 0xbf06c442, v155
	v_fma_f32 v155, v83, s22, -v154
	v_add_f32_e32 v18, v155, v18
	v_mul_f32_e32 v155, 0x3f2c7751, v156
	;; [unrolled: 3-line block ×7, first 2 shown]
	v_mul_f32_e32 v17, v151, v17
	v_fma_f32 v18, v151, v23, -v18
	v_fmac_f32_e32 v17, v160, v23
	v_fma_f32 v23, v27, s2, -v143
	v_fma_f32 v143, v30, s23, -v144
	v_add_f32_e32 v143, v143, v2
	v_add_f32_e32 v23, v23, v143
	v_fma_f32 v143, v33, s22, -v145
	v_add_f32_e32 v23, v143, v23
	v_fma_f32 v143, v35, s3, -v146
	v_add_f32_e32 v23, v143, v23
	v_fma_f32 v143, v37, s21, -v147
	v_add_f32_e32 v23, v143, v23
	v_fma_f32 v143, v41, s12, -v148
	v_add_f32_e32 v23, v143, v23
	v_fma_f32 v143, v82, s20, -v149
	v_add_f32_e32 v23, v143, v23
	v_fma_f32 v143, v88, s13, -v150
	v_fmac_f32_e32 v153, 0xbf7ba420, v38
	v_add_f32_e32 v143, v143, v23
	v_fmac_f32_e32 v152, 0x3f6eb680, v43
	v_add_f32_e32 v23, v153, v1
	v_add_f32_e32 v23, v152, v23
	v_fmac_f32_e32 v154, 0xbf59a7d5, v83
	v_add_f32_e32 v23, v154, v23
	v_fmac_f32_e32 v155, 0x3f3d2fb0, v87
	v_add_f32_e32 v23, v155, v23
	v_fmac_f32_e32 v156, 0xbf1a4643, v92
	v_add_f32_e32 v23, v156, v23
	v_fmac_f32_e32 v157, 0x3ee437d1, v95
	v_add_f32_e32 v23, v157, v23
	v_fmac_f32_e32 v158, 0xbe8c1d8e, v96
	v_add_f32_e32 v23, v158, v23
	v_fmac_f32_e32 v159, 0x3dbcf732, v97
	v_add_f32_e32 v144, v159, v23
	v_mul_f32_e32 v23, v144, v22
	v_mul_f32_e32 v22, v143, v22
	v_fma_f32 v23, v143, v25, -v23
	v_fmac_f32_e32 v22, v144, v25
	v_fma_f32 v25, v27, s12, -v141
	v_fma_f32 v141, v30, s22, -v142
	v_add_f32_e32 v141, v141, v2
	v_add_f32_e32 v25, v25, v141
	v_fma_f32 v141, v33, s13, -v207
	v_add_f32_e32 v25, v141, v25
	v_fma_f32 v141, v35, s21, -v208
	v_add_f32_e32 v25, v141, v25
	v_fma_f32 v141, v37, s2, -v209
	v_add_f32_e32 v25, v141, v25
	v_fma_f32 v141, v41, s23, -v210
	v_add_f32_e32 v25, v141, v25
	v_fma_f32 v141, v82, s3, -v211
	v_add_f32_e32 v25, v141, v25
	v_fma_f32 v141, v88, s20, -v212
	v_fmac_f32_e32 v213, 0xbf59a7d5, v38
	v_add_f32_e32 v141, v141, v25
	v_fmac_f32_e32 v214, 0x3ee437d1, v43
	v_add_f32_e32 v25, v213, v1
	v_add_f32_e32 v25, v214, v25
	v_fmac_f32_e32 v215, 0x3dbcf732, v83
	v_add_f32_e32 v25, v215, v25
	v_fmac_f32_e32 v216, 0xbf1a4643, v87
	v_add_f32_e32 v25, v216, v25
	v_fmac_f32_e32 v217, 0x3f6eb680, v92
	v_add_f32_e32 v25, v217, v25
	v_fmac_f32_e32 v218, 0xbf7ba420, v95
	v_add_f32_e32 v25, v218, v25
	v_fmac_f32_e32 v219, 0x3f3d2fb0, v96
	v_add_f32_e32 v25, v219, v25
	v_fmac_f32_e32 v220, 0xbe8c1d8e, v97
	v_add_f32_e32 v142, v220, v25
	v_mul_f32_e32 v25, v142, v24
	;; [unrolled: 36-line block ×3, first 2 shown]
	v_fma_f32 v140, v122, v114, -v139
	v_mul_f32_e32 v139, v122, v115
	v_fma_f32 v115, v30, s20, -v178
	v_fmac_f32_e32 v139, v141, v114
	v_fma_f32 v114, v27, s22, -v177
	v_add_f32_e32 v115, v115, v2
	v_add_f32_e32 v114, v114, v115
	v_fma_f32 v115, v33, s3, -v179
	v_add_f32_e32 v114, v115, v114
	v_fma_f32 v115, v35, s12, -v180
	v_add_f32_e32 v114, v115, v114
	v_fma_f32 v115, v37, s23, -v181
	v_add_f32_e32 v114, v115, v114
	v_fma_f32 v115, v41, s13, -v182
	v_add_f32_e32 v114, v115, v114
	v_fma_f32 v115, v82, s2, -v183
	v_add_f32_e32 v114, v115, v114
	v_fma_f32 v115, v88, s21, -v184
	v_fmac_f32_e32 v185, 0xbe8c1d8e, v38
	v_add_f32_e32 v115, v115, v114
	v_fmac_f32_e32 v186, 0xbf59a7d5, v43
	v_add_f32_e32 v114, v185, v1
	v_add_f32_e32 v114, v186, v114
	v_fmac_f32_e32 v187, 0x3f3d2fb0, v83
	v_add_f32_e32 v114, v187, v114
	v_fmac_f32_e32 v188, 0x3ee437d1, v87
	v_add_f32_e32 v114, v188, v114
	v_fmac_f32_e32 v189, 0xbf7ba420, v92
	v_add_f32_e32 v114, v189, v114
	v_fmac_f32_e32 v190, 0x3dbcf732, v95
	v_add_f32_e32 v114, v190, v114
	v_fmac_f32_e32 v191, 0x3f6eb680, v96
	v_add_f32_e32 v114, v191, v114
	v_fmac_f32_e32 v192, 0xbf1a4643, v97
	v_add_f32_e32 v122, v192, v114
	v_mul_f32_e32 v114, v122, v113
	v_fma_f32 v114, v115, v112, -v114
	v_mul_f32_e32 v113, v115, v113
	v_fma_f32 v115, v30, s13, -v162
	v_fmac_f32_e32 v113, v122, v112
	v_fma_f32 v112, v27, s23, -v161
	v_add_f32_e32 v115, v115, v2
	v_add_f32_e32 v112, v112, v115
	v_fma_f32 v115, v33, s20, -v163
	v_add_f32_e32 v112, v115, v112
	v_fma_f32 v115, v35, s2, -v164
	v_add_f32_e32 v112, v115, v112
	v_fma_f32 v115, v37, s12, -v165
	v_add_f32_e32 v112, v115, v112
	v_fma_f32 v115, v41, s22, -v166
	v_add_f32_e32 v112, v115, v112
	v_fma_f32 v115, v82, s21, -v167
	v_add_f32_e32 v112, v115, v112
	v_fma_f32 v115, v88, s3, -v168
	v_fmac_f32_e32 v169, 0x3dbcf732, v38
	v_add_f32_e32 v115, v115, v112
	v_fmac_f32_e32 v170, 0xbf7ba420, v43
	v_add_f32_e32 v112, v169, v1
	v_add_f32_e32 v112, v170, v112
	v_fmac_f32_e32 v171, 0xbe8c1d8e, v83
	v_add_f32_e32 v112, v171, v112
	v_fmac_f32_e32 v172, 0x3f6eb680, v87
	v_add_f32_e32 v112, v172, v112
	v_fmac_f32_e32 v173, 0x3ee437d1, v92
	v_add_f32_e32 v112, v173, v112
	v_fmac_f32_e32 v174, 0xbf59a7d5, v95
	v_add_f32_e32 v112, v174, v112
	v_fmac_f32_e32 v175, 0xbf1a4643, v96
	v_add_f32_e32 v112, v175, v112
	v_fmac_f32_e32 v176, 0x3f3d2fb0, v97
	v_add_f32_e32 v122, v176, v112
	v_mul_f32_e32 v112, v122, v111
	;; [unrolled: 36-line block ×3, first 2 shown]
	v_fma_f32 v123, v110, v98, -v122
	v_mul_f32_e32 v122, v110, v99
	v_fma_f32 v99, v30, s3, -v109
	v_fmac_f32_e32 v122, v115, v98
	v_fma_f32 v98, v27, s13, -v108
	v_add_f32_e32 v99, v99, v2
	v_add_f32_e32 v98, v98, v99
	v_fma_f32 v99, v33, s21, -v116
	v_add_f32_e32 v98, v99, v98
	v_fma_f32 v99, v35, s23, -v117
	;; [unrolled: 2-line block ×3, first 2 shown]
	v_mul_lo_u32 v21, v21, v45
	v_lshl_or_b32 v19, v19, 3, v46
	v_add_f32_e32 v98, v99, v98
	v_fma_f32 v99, v41, s20, -v119
	global_load_dwordx2 v[19:20], v19, s[16:17]
	v_add_f32_e32 v98, v99, v98
	v_fma_f32 v99, v82, s12, -v120
	v_add_f32_e32 v98, v99, v98
	v_fma_f32 v99, v88, s2, -v121
	v_fmac_f32_e32 v106, 0x3f3d2fb0, v38
	v_add_f32_e32 v108, v99, v98
	v_fmac_f32_e32 v107, 0x3dbcf732, v43
	v_add_f32_e32 v98, v106, v1
	v_lshlrev_b32_sdwa v106, v47, v21 dst_sel:DWORD dst_unused:UNUSED_PAD src0_sel:DWORD src1_sel:BYTE_0
	v_lshlrev_b32_sdwa v47, v47, v21 dst_sel:DWORD dst_unused:UNUSED_PAD src0_sel:DWORD src1_sel:BYTE_1
	v_add_f32_e32 v109, v107, v98
	global_load_dwordx2 v[98:99], v47, s[16:17] offset:2048
	s_nop 0
	global_load_dwordx2 v[106:107], v106, s[16:17]
	v_bfe_u32 v21, v21, 16, 8
	v_lshl_or_b32 v21, v21, 3, v46
	global_load_dwordx2 v[46:47], v21, s[16:17]
	v_fmac_f32_e32 v100, 0xbf1a4643, v83
	v_add_f32_e32 v21, v100, v109
	v_fmac_f32_e32 v101, 0xbf7ba420, v87
	v_add_f32_e32 v21, v101, v21
	;; [unrolled: 2-line block ×3, first 2 shown]
	v_fmac_f32_e32 v103, 0xbe8c1d8e, v95
	v_fma_f32 v26, v27, s3, -v26
	v_fma_f32 v27, v30, s2, -v29
	v_add_f32_e32 v21, v103, v21
	v_fmac_f32_e32 v104, 0x3ee437d1, v96
	v_add_f32_e32 v27, v27, v2
	v_add_f32_e32 v21, v104, v21
	v_fmac_f32_e32 v105, 0x3f6eb680, v97
	v_fma_f32 v32, v33, s12, -v32
	v_add_f32_e32 v26, v26, v27
	v_add_f32_e32 v21, v105, v21
	v_fma_f32 v34, v35, s13, -v34
	v_add_f32_e32 v26, v32, v26
	v_mul_f32_e32 v100, v21, v31
	v_fma_f32 v36, v37, s20, -v36
	v_add_f32_e32 v26, v34, v26
	v_fma_f32 v101, v108, v28, -v100
	v_mul_f32_e32 v100, v108, v31
	v_fma_f32 v31, v41, s21, -v40
	v_add_f32_e32 v26, v36, v26
	v_fmac_f32_e32 v100, v21, v28
	v_fma_f32 v28, v82, s22, -v81
	v_add_f32_e32 v26, v31, v26
	v_add_f32_e32 v2, v79, v2
	v_fma_f32 v21, v88, s23, -v86
	v_add_f32_e32 v26, v28, v26
	v_fmac_f32_e32 v39, 0x3f6eb680, v38
	v_add_f32_e32 v2, v2, v78
	v_add_f32_e32 v21, v21, v26
	;; [unrolled: 1-line block ×11, first 2 shown]
	v_fmac_f32_e32 v42, 0x3f3d2fb0, v43
	v_add_f32_e32 v2, v2, v61
	v_add_f32_e32 v1, v1, v54
	v_fmac_f32_e32 v80, 0x3ee437d1, v83
	v_add_f32_e32 v26, v42, v26
	v_add_f32_e32 v2, v2, v58
	v_add_f32_e32 v1, v1, v53
	v_fmac_f32_e32 v84, 0x3dbcf732, v87
	v_add_f32_e32 v26, v80, v26
	;; [unrolled: 4-line block ×6, first 2 shown]
	s_waitcnt vmcnt(3)
	v_mul_f32_e32 v28, v89, v20
	v_add_f32_e32 v2, v2, v67
	v_add_f32_e32 v1, v1, v52
	;; [unrolled: 1-line block ×3, first 2 shown]
	v_mul_f32_e32 v27, v91, v20
	v_fmac_f32_e32 v28, v19, v91
	v_add_f32_e32 v2, v2, v74
	v_add_f32_e32 v1, v1, v55
	v_fma_f32 v27, v19, v89, -v27
	v_mul_f32_e32 v19, v26, v28
	v_add_f32_e32 v2, v2, v76
	v_add_f32_e32 v1, v1, v56
	v_fma_f32 v20, v21, v27, -v19
	v_mul_f32_e32 v19, v21, v28
	v_add_f32_e32 v21, v2, v77
	s_waitcnt vmcnt(1)
	v_mul_f32_e32 v2, v107, v99
	v_add_f32_e32 v1, v1, v70
	v_fmac_f32_e32 v19, v26, v27
	v_fma_f32 v2, v106, v98, -v2
	v_mul_f32_e32 v26, v106, v99
	v_add_f32_e32 v1, v1, v71
	v_fmac_f32_e32 v26, v107, v98
	v_add_f32_e32 v28, v1, v72
	s_waitcnt vmcnt(0)
	v_mul_f32_e32 v1, v2, v47
	v_mul_f32_e32 v27, v26, v47
	v_fmac_f32_e32 v1, v46, v26
	s_mul_hi_u32 s2, s0, s24
	v_fma_f32 v27, v46, v2, -v27
	v_mul_f32_e32 v2, v28, v1
	v_mul_f32_e32 v1, v21, v1
	s_add_i32 s1, s2, s1
	v_fma_f32 v2, v21, v27, -v2
	v_fmac_f32_e32 v1, v28, v27
	v_mad_u64_u32 v[26:27], s[2:3], s10, v44, 0
	s_movk_i32 s2, 0x227
	v_mul_u32_u24_sdwa v0, v0, s2 dst_sel:DWORD dst_unused:UNUSED_PAD src0_sel:WORD_0 src1_sel:DWORD
	s_movk_i32 s2, 0x121
	v_mul_lo_u16_sdwa v0, v0, s2 dst_sel:DWORD dst_unused:UNUSED_PAD src0_sel:WORD_1 src1_sel:DWORD
	v_add_u32_e32 v33, v45, v0
	v_mad_u64_u32 v[28:29], s[2:3], s8, v33, 0
	v_mov_b32_e32 v0, v27
	v_mad_u64_u32 v[30:31], s[2:3], s11, v44, v[0:1]
	s_mul_i32 s0, s0, s24
	v_mov_b32_e32 v0, v29
	v_mad_u64_u32 v[31:32], s[2:3], s9, v33, v[0:1]
	s_lshl_b64 s[0:1], s[0:1], 3
	s_add_u32 s2, s14, s0
	v_mov_b32_e32 v27, v30
	s_addc_u32 s3, s15, s1
	s_lshl_b64 s[0:1], s[4:5], 3
	s_add_u32 s0, s2, s0
	v_lshlrev_b64 v[26:27], 3, v[26:27]
	s_addc_u32 s1, s3, s1
	v_mov_b32_e32 v29, v31
	v_mov_b32_e32 v0, s1
	v_add_co_u32_e32 v30, vcc, s0, v26
	v_add_u32_e32 v21, 17, v33
	v_addc_co_u32_e32 v31, vcc, v0, v27, vcc
	v_lshlrev_b64 v[26:27], 3, v[28:29]
	v_mad_u64_u32 v[28:29], s[0:1], s8, v21, 0
	v_add_co_u32_e32 v26, vcc, v30, v26
	v_addc_co_u32_e32 v27, vcc, v31, v27, vcc
	v_mov_b32_e32 v0, v29
	global_store_dwordx2 v[26:27], v[1:2], off
	v_mad_u64_u32 v[0:1], s[0:1], s9, v21, v[0:1]
	v_add_u32_e32 v21, 34, v33
	v_mad_u64_u32 v[1:2], s[0:1], s8, v21, 0
	v_mov_b32_e32 v29, v0
	v_lshlrev_b64 v[26:27], 3, v[28:29]
	v_mov_b32_e32 v0, v2
	v_mad_u64_u32 v[28:29], s[0:1], s9, v21, v[0:1]
	v_add_co_u32_e32 v26, vcc, v30, v26
	v_mov_b32_e32 v2, v28
	v_addc_co_u32_e32 v27, vcc, v31, v27, vcc
	v_lshlrev_b64 v[0:1], 3, v[1:2]
	v_add_u32_e32 v2, 51, v33
	global_store_dwordx2 v[26:27], v[19:20], off
	v_mad_u64_u32 v[19:20], s[0:1], s8, v2, 0
	v_add_co_u32_e32 v0, vcc, v30, v0
	v_addc_co_u32_e32 v1, vcc, v31, v1, vcc
	global_store_dwordx2 v[0:1], v[100:101], off
	v_mov_b32_e32 v0, v20
	v_mad_u64_u32 v[0:1], s[0:1], s9, v2, v[0:1]
	v_add_u32_e32 v21, 0x44, v33
	v_mad_u64_u32 v[1:2], s[0:1], s8, v21, 0
	v_mov_b32_e32 v20, v0
	v_lshlrev_b64 v[19:20], 3, v[19:20]
	v_mov_b32_e32 v0, v2
	v_mad_u64_u32 v[26:27], s[0:1], s9, v21, v[0:1]
	v_add_co_u32_e32 v19, vcc, v30, v19
	v_mov_b32_e32 v2, v26
	v_addc_co_u32_e32 v20, vcc, v31, v20, vcc
	v_lshlrev_b64 v[0:1], 3, v[1:2]
	v_add_u32_e32 v2, 0x55, v33
	global_store_dwordx2 v[19:20], v[122:123], off
	v_mad_u64_u32 v[19:20], s[0:1], s8, v2, 0
	v_add_co_u32_e32 v0, vcc, v30, v0
	v_addc_co_u32_e32 v1, vcc, v31, v1, vcc
	global_store_dwordx2 v[0:1], v[111:112], off
	v_mov_b32_e32 v0, v20
	;; [unrolled: 18-line block ×7, first 2 shown]
	v_mad_u64_u32 v[0:1], s[0:1], s9, v2, v[0:1]
	v_add_u32_e32 v11, 0x110, v33
	v_mad_u64_u32 v[1:2], s[0:1], s8, v11, 0
	v_mov_b32_e32 v10, v0
	v_lshlrev_b64 v[7:8], 3, v[9:10]
	v_mov_b32_e32 v0, v2
	v_mad_u64_u32 v[9:10], s[0:1], s9, v11, v[0:1]
	v_add_co_u32_e32 v7, vcc, v30, v7
	v_mov_b32_e32 v2, v9
	v_lshlrev_b64 v[0:1], 3, v[1:2]
	v_addc_co_u32_e32 v8, vcc, v31, v8, vcc
	v_add_co_u32_e32 v0, vcc, v30, v0
	v_addc_co_u32_e32 v1, vcc, v31, v1, vcc
	global_store_dwordx2 v[7:8], v[5:6], off
	global_store_dwordx2 v[0:1], v[3:4], off
.LBB0_16:
	s_endpgm
	.section	.rodata,"a",@progbits
	.p2align	6, 0x0
	.amdhsa_kernel fft_rtc_back_len289_factors_17_17_wgs_119_tpt_17_sp_op_CI_CI_sbcc_twdbase8_3step_dirReg
		.amdhsa_group_segment_fixed_size 0
		.amdhsa_private_segment_fixed_size 0
		.amdhsa_kernarg_size 112
		.amdhsa_user_sgpr_count 6
		.amdhsa_user_sgpr_private_segment_buffer 1
		.amdhsa_user_sgpr_dispatch_ptr 0
		.amdhsa_user_sgpr_queue_ptr 0
		.amdhsa_user_sgpr_kernarg_segment_ptr 1
		.amdhsa_user_sgpr_dispatch_id 0
		.amdhsa_user_sgpr_flat_scratch_init 0
		.amdhsa_user_sgpr_private_segment_size 0
		.amdhsa_uses_dynamic_stack 0
		.amdhsa_system_sgpr_private_segment_wavefront_offset 0
		.amdhsa_system_sgpr_workgroup_id_x 1
		.amdhsa_system_sgpr_workgroup_id_y 0
		.amdhsa_system_sgpr_workgroup_id_z 0
		.amdhsa_system_sgpr_workgroup_info 0
		.amdhsa_system_vgpr_workitem_id 0
		.amdhsa_next_free_vgpr 221
		.amdhsa_next_free_sgpr 57
		.amdhsa_reserve_vcc 1
		.amdhsa_reserve_flat_scratch 0
		.amdhsa_float_round_mode_32 0
		.amdhsa_float_round_mode_16_64 0
		.amdhsa_float_denorm_mode_32 3
		.amdhsa_float_denorm_mode_16_64 3
		.amdhsa_dx10_clamp 1
		.amdhsa_ieee_mode 1
		.amdhsa_fp16_overflow 0
		.amdhsa_exception_fp_ieee_invalid_op 0
		.amdhsa_exception_fp_denorm_src 0
		.amdhsa_exception_fp_ieee_div_zero 0
		.amdhsa_exception_fp_ieee_overflow 0
		.amdhsa_exception_fp_ieee_underflow 0
		.amdhsa_exception_fp_ieee_inexact 0
		.amdhsa_exception_int_div_zero 0
	.end_amdhsa_kernel
	.text
.Lfunc_end0:
	.size	fft_rtc_back_len289_factors_17_17_wgs_119_tpt_17_sp_op_CI_CI_sbcc_twdbase8_3step_dirReg, .Lfunc_end0-fft_rtc_back_len289_factors_17_17_wgs_119_tpt_17_sp_op_CI_CI_sbcc_twdbase8_3step_dirReg
                                        ; -- End function
	.section	.AMDGPU.csdata,"",@progbits
; Kernel info:
; codeLenInByte = 16100
; NumSgprs: 61
; NumVgprs: 221
; ScratchSize: 0
; MemoryBound: 0
; FloatMode: 240
; IeeeMode: 1
; LDSByteSize: 0 bytes/workgroup (compile time only)
; SGPRBlocks: 7
; VGPRBlocks: 55
; NumSGPRsForWavesPerEU: 61
; NumVGPRsForWavesPerEU: 221
; Occupancy: 1
; WaveLimiterHint : 1
; COMPUTE_PGM_RSRC2:SCRATCH_EN: 0
; COMPUTE_PGM_RSRC2:USER_SGPR: 6
; COMPUTE_PGM_RSRC2:TRAP_HANDLER: 0
; COMPUTE_PGM_RSRC2:TGID_X_EN: 1
; COMPUTE_PGM_RSRC2:TGID_Y_EN: 0
; COMPUTE_PGM_RSRC2:TGID_Z_EN: 0
; COMPUTE_PGM_RSRC2:TIDIG_COMP_CNT: 0
	.type	__hip_cuid_1c714177889c959,@object ; @__hip_cuid_1c714177889c959
	.section	.bss,"aw",@nobits
	.globl	__hip_cuid_1c714177889c959
__hip_cuid_1c714177889c959:
	.byte	0                               ; 0x0
	.size	__hip_cuid_1c714177889c959, 1

	.ident	"AMD clang version 19.0.0git (https://github.com/RadeonOpenCompute/llvm-project roc-6.4.0 25133 c7fe45cf4b819c5991fe208aaa96edf142730f1d)"
	.section	".note.GNU-stack","",@progbits
	.addrsig
	.addrsig_sym __hip_cuid_1c714177889c959
	.amdgpu_metadata
---
amdhsa.kernels:
  - .args:
      - .actual_access:  read_only
        .address_space:  global
        .offset:         0
        .size:           8
        .value_kind:     global_buffer
      - .address_space:  global
        .offset:         8
        .size:           8
        .value_kind:     global_buffer
      - .offset:         16
        .size:           8
        .value_kind:     by_value
      - .actual_access:  read_only
        .address_space:  global
        .offset:         24
        .size:           8
        .value_kind:     global_buffer
      - .actual_access:  read_only
        .address_space:  global
        .offset:         32
        .size:           8
        .value_kind:     global_buffer
      - .actual_access:  read_only
        .address_space:  global
        .offset:         40
        .size:           8
        .value_kind:     global_buffer
      - .offset:         48
        .size:           8
        .value_kind:     by_value
      - .actual_access:  read_only
        .address_space:  global
        .offset:         56
        .size:           8
        .value_kind:     global_buffer
      - .actual_access:  read_only
        .address_space:  global
        .offset:         64
        .size:           8
        .value_kind:     global_buffer
      - .offset:         72
        .size:           4
        .value_kind:     by_value
      - .actual_access:  read_only
        .address_space:  global
        .offset:         80
        .size:           8
        .value_kind:     global_buffer
      - .actual_access:  read_only
        .address_space:  global
        .offset:         88
        .size:           8
        .value_kind:     global_buffer
      - .actual_access:  read_only
        .address_space:  global
        .offset:         96
        .size:           8
        .value_kind:     global_buffer
      - .actual_access:  write_only
        .address_space:  global
        .offset:         104
        .size:           8
        .value_kind:     global_buffer
    .group_segment_fixed_size: 0
    .kernarg_segment_align: 8
    .kernarg_segment_size: 112
    .language:       OpenCL C
    .language_version:
      - 2
      - 0
    .max_flat_workgroup_size: 119
    .name:           fft_rtc_back_len289_factors_17_17_wgs_119_tpt_17_sp_op_CI_CI_sbcc_twdbase8_3step_dirReg
    .private_segment_fixed_size: 0
    .sgpr_count:     61
    .sgpr_spill_count: 0
    .symbol:         fft_rtc_back_len289_factors_17_17_wgs_119_tpt_17_sp_op_CI_CI_sbcc_twdbase8_3step_dirReg.kd
    .uniform_work_group_size: 1
    .uses_dynamic_stack: false
    .vgpr_count:     221
    .vgpr_spill_count: 0
    .wavefront_size: 64
amdhsa.target:   amdgcn-amd-amdhsa--gfx906
amdhsa.version:
  - 1
  - 2
...

	.end_amdgpu_metadata
